;; amdgpu-corpus repo=ROCm/rocFFT kind=compiled arch=gfx1201 opt=O3
	.text
	.amdgcn_target "amdgcn-amd-amdhsa--gfx1201"
	.amdhsa_code_object_version 6
	.protected	bluestein_single_fwd_len3750_dim1_sp_op_CI_CI ; -- Begin function bluestein_single_fwd_len3750_dim1_sp_op_CI_CI
	.globl	bluestein_single_fwd_len3750_dim1_sp_op_CI_CI
	.p2align	8
	.type	bluestein_single_fwd_len3750_dim1_sp_op_CI_CI,@function
bluestein_single_fwd_len3750_dim1_sp_op_CI_CI: ; @bluestein_single_fwd_len3750_dim1_sp_op_CI_CI
; %bb.0:
	s_load_b128 s[12:15], s[0:1], 0x28
	v_mul_u32_u24_e32 v1, 0x20d, v0
	s_mov_b32 s2, exec_lo
	v_mov_b32_e32 v3, 0
	s_delay_alu instid0(VALU_DEP_2) | instskip(NEXT) | instid1(VALU_DEP_1)
	v_lshrrev_b32_e32 v1, 16, v1
	v_add_nc_u32_e32 v2, ttmp9, v1
	s_wait_kmcnt 0x0
	s_delay_alu instid0(VALU_DEP_1)
	v_cmpx_gt_u64_e64 s[12:13], v[2:3]
	s_cbranch_execz .LBB0_2
; %bb.1:
	s_clause 0x1
	s_load_b128 s[4:7], s[0:1], 0x18
	s_load_b128 s[8:11], s[0:1], 0x0
	v_mul_lo_u16 v1, 0x7d, v1
	v_mov_b32_e32 v4, v2
	s_movk_i32 s2, 0xb5c8
	s_mov_b32 s3, -1
	s_load_b64 s[0:1], s[0:1], 0x38
	v_sub_nc_u16 v160, v0, v1
	scratch_store_b64 off, v[4:5], off      ; 8-byte Folded Spill
	v_and_b32_e32 v162, 0xffff, v160
	s_wait_kmcnt 0x0
	s_load_b128 s[16:19], s[4:5], 0x0
	s_wait_kmcnt 0x0
	v_mad_co_u64_u32 v[0:1], null, s18, v2, 0
	v_mad_co_u64_u32 v[2:3], null, s16, v162, 0
	s_mul_u64 s[4:5], s[16:17], 0x2710
	s_mul_u64 s[12:13], s[16:17], s[2:3]
	s_delay_alu instid0(VALU_DEP_1) | instskip(NEXT) | instid1(VALU_DEP_1)
	v_mad_co_u64_u32 v[4:5], null, s19, v4, v[1:2]
	v_mov_b32_e32 v1, v4
	s_delay_alu instid0(VALU_DEP_3) | instskip(SKIP_1) | instid1(VALU_DEP_3)
	v_mad_co_u64_u32 v[5:6], null, s17, v162, v[3:4]
	v_add_co_u32 v172, null, 0x177, v162
	v_lshlrev_b64_e32 v[0:1], 3, v[0:1]
	v_add_co_u32 v213, null, 0x271, v162
	v_add_co_u32 v161, null, 0x7d, v162
	v_mov_b32_e32 v3, v5
	s_delay_alu instid0(VALU_DEP_4) | instskip(SKIP_1) | instid1(VALU_DEP_3)
	v_add_co_u32 v0, vcc_lo, s14, v0
	v_add_co_ci_u32_e32 v1, vcc_lo, s15, v1, vcc_lo
	v_lshlrev_b64_e32 v[2:3], 3, v[2:3]
	v_add_co_u32 v168, null, 0xfa, v162
	v_add_co_u32 v167, null, 0x1f4, v162
	s_delay_alu instid0(VALU_DEP_3) | instskip(SKIP_1) | instid1(VALU_DEP_4)
	v_add_co_u32 v0, vcc_lo, v0, v2
	s_wait_alu 0xfffd
	v_add_co_ci_u32_e32 v1, vcc_lo, v1, v3, vcc_lo
	s_delay_alu instid0(VALU_DEP_2) | instskip(SKIP_1) | instid1(VALU_DEP_2)
	v_add_co_u32 v2, vcc_lo, v0, s4
	s_wait_alu 0xfffd
	v_add_co_ci_u32_e32 v3, vcc_lo, s5, v1, vcc_lo
	global_load_b64 v[0:1], v[0:1], off
	v_add_co_u32 v6, vcc_lo, v2, s4
	s_wait_alu 0xfffd
	v_add_co_ci_u32_e32 v7, vcc_lo, s5, v3, vcc_lo
	global_load_b64 v[2:3], v[2:3], off
	s_wait_alu 0xfffe
	v_add_co_u32 v8, vcc_lo, v6, s12
	global_load_b64 v[4:5], v[6:7], off
	v_lshlrev_b32_e32 v196, 3, v162
	s_wait_alu 0xfffd
	v_add_co_ci_u32_e32 v9, vcc_lo, s13, v7, vcc_lo
	s_clause 0x2
	global_load_b64 v[40:41], v196, s[8:9]
	global_load_b64 v[42:43], v196, s[8:9] offset:10000
	global_load_b64 v[36:37], v196, s[8:9] offset:20000
	s_wait_loadcnt 0x2
	v_mul_f32_e32 v31, v0, v41
	global_load_b64 v[44:45], v196, s[8:9] offset:1000
	global_load_b64 v[6:7], v[8:9], off
	s_clause 0x1
	global_load_b64 v[38:39], v196, s[8:9] offset:11000
	global_load_b64 v[34:35], v196, s[8:9] offset:12000
	v_add_co_u32 v8, vcc_lo, v8, s4
	s_wait_alu 0xfffd
	v_add_co_ci_u32_e32 v9, vcc_lo, s5, v9, vcc_lo
	s_clause 0x1
	global_load_b64 v[60:61], v196, s[8:9] offset:21000
	global_load_b64 v[50:51], v196, s[8:9] offset:22000
	v_add_co_u32 v10, vcc_lo, v8, s4
	s_wait_alu 0xfffd
	v_add_co_ci_u32_e32 v11, vcc_lo, s5, v9, vcc_lo
	;; [unrolled: 6-line block ×3, first 2 shown]
	global_load_b64 v[8:9], v[8:9], off
	v_add_co_u32 v14, vcc_lo, v12, s4
	s_wait_alu 0xfffd
	v_add_co_ci_u32_e32 v15, vcc_lo, s5, v13, vcc_lo
	global_load_b64 v[10:11], v[10:11], off
	v_add_co_u32 v16, vcc_lo, v14, s4
	s_wait_alu 0xfffd
	v_add_co_ci_u32_e32 v17, vcc_lo, s5, v15, vcc_lo
	global_load_b64 v[14:15], v[14:15], off
	v_add_co_u32 v18, vcc_lo, v16, s12
	s_wait_alu 0xfffd
	v_add_co_ci_u32_e32 v19, vcc_lo, s13, v17, vcc_lo
	global_load_b64 v[12:13], v[12:13], off
	v_add_co_u32 v20, vcc_lo, v18, s4
	s_wait_alu 0xfffd
	v_add_co_ci_u32_e32 v21, vcc_lo, s5, v19, vcc_lo
	global_load_b64 v[16:17], v[16:17], off
	v_add_co_u32 v22, vcc_lo, v20, s4
	s_wait_alu 0xfffd
	v_add_co_ci_u32_e32 v23, vcc_lo, s5, v21, vcc_lo
	global_load_b64 v[18:19], v[18:19], off
	v_add_co_u32 v24, vcc_lo, v22, s12
	s_wait_alu 0xfffd
	v_add_co_ci_u32_e32 v25, vcc_lo, s13, v23, vcc_lo
	s_wait_loadcnt 0xf
	v_dual_mul_f32 v30, v1, v41 :: v_dual_mul_f32 v33, v2, v43
	v_add_co_u32 v26, vcc_lo, v24, s4
	global_load_b64 v[20:21], v[20:21], off
	s_wait_alu 0xfffd
	v_add_co_ci_u32_e32 v27, vcc_lo, s5, v25, vcc_lo
	s_clause 0x3
	global_load_b64 v[54:55], v196, s[8:9] offset:13000
	global_load_b64 v[48:49], v196, s[8:9] offset:14000
	;; [unrolled: 1-line block ×4, first 2 shown]
	global_load_b64 v[22:23], v[22:23], off
	global_load_b64 v[28:29], v[26:27], off
	v_fma_f32 v31, v1, v40, -v31
	s_wait_loadcnt 0x15
	v_dual_mul_f32 v32, v3, v43 :: v_dual_mul_f32 v1, v4, v37
	v_fmac_f32_e32 v30, v0, v40
	v_mul_f32_e32 v0, v5, v37
	v_fma_f32 v33, v3, v42, -v33
	s_delay_alu instid0(VALU_DEP_4)
	v_fmac_f32_e32 v32, v2, v42
	v_fma_f32 v1, v5, v36, -v1
	v_add_co_u32 v26, vcc_lo, v26, s4
	v_fmac_f32_e32 v0, v4, v36
	s_clause 0x2
	scratch_store_b64 off, v[40:41], off offset:240
	scratch_store_b64 off, v[42:43], off offset:224
	;; [unrolled: 1-line block ×3, first 2 shown]
	s_wait_alu 0xfffd
	v_add_co_ci_u32_e32 v27, vcc_lo, s5, v27, vcc_lo
	global_load_b64 v[40:41], v196, s[8:9] offset:4000
	global_load_b64 v[2:3], v[24:25], off
	ds_store_b64 v196, v[32:33] offset:10000
	ds_store_b64 v196, v[0:1] offset:20000
	global_load_b64 v[36:37], v196, s[8:9] offset:24000
	v_add_nc_u32_e32 v24, 0x400, v196
	v_add_nc_u32_e32 v220, 0x5400, v196
	v_add_nc_u32_e32 v25, 0x5000, v196
	v_add_nc_u32_e32 v207, 0x3400, v196
	s_delay_alu instid0(VALU_DEP_4) | instskip(SKIP_1) | instid1(VALU_DEP_2)
	v_dual_mov_b32 v204, v24 :: v_dual_add_nc_u32 v77, 0x6c00, v196
	v_add_nc_u32_e32 v197, 0x4400, v196
	v_mov_b32_e32 v203, v77
	s_wait_loadcnt 0x16
	v_mul_f32_e32 v5, v6, v45
	v_mul_f32_e32 v4, v7, v45
	s_wait_loadcnt 0x14
	scratch_store_b64 off, v[34:35], off offset:168 ; 8-byte Folded Spill
	v_fma_f32 v5, v7, v44, -v5
	s_wait_loadcnt 0x13
	s_clause 0x2
	scratch_store_b64 off, v[60:61], off offset:200
	scratch_store_b64 off, v[44:45], off offset:232
	;; [unrolled: 1-line block ×3, first 2 shown]
	s_wait_loadcnt 0x12
	scratch_store_b64 off, v[50:51], off offset:144 ; 8-byte Folded Spill
	s_wait_loadcnt 0x11
	scratch_store_b64 off, v[58:59], off offset:208 ; 8-byte Folded Spill
	;; [unrolled: 2-line block ×3, first 2 shown]
	s_wait_loadcnt 0xf
	v_mul_f32_e32 v1, v8, v39
	v_mul_f32_e32 v0, v9, v39
	s_delay_alu instid0(VALU_DEP_2) | instskip(SKIP_1) | instid1(VALU_DEP_2)
	v_fma_f32 v1, v9, v38, -v1
	s_wait_loadcnt 0xd
	v_dual_fmac_f32 v0, v8, v38 :: v_dual_mul_f32 v9, v14, v35
	v_fmac_f32_e32 v4, v6, v44
	global_load_b64 v[6:7], v[26:27], off
	v_mul_f32_e32 v8, v15, v35
	v_fma_f32 v9, v15, v34, -v9
	ds_store_2addr_b64 v196, v[30:31], v[4:5] offset1:125
	v_mul_f32_e32 v4, v11, v61
	global_load_b64 v[30:31], v196, s[8:9] offset:15000
	v_mul_f32_e32 v5, v10, v61
	v_fmac_f32_e32 v8, v14, v34
	v_add_nc_u32_e32 v14, 0x2800, v196
	v_fmac_f32_e32 v4, v10, v60
	s_wait_loadcnt 0xe
	v_mul_f32_e32 v10, v13, v59
	v_fma_f32 v5, v11, v60, -v5
	v_mul_f32_e32 v11, v12, v59
	ds_store_2addr_b64 v14, v[0:1], v[8:9] offset0:95 offset1:220
	s_wait_loadcnt 0xd
	v_mul_f32_e32 v0, v17, v51
	v_fmac_f32_e32 v10, v12, v58
	v_mul_f32_e32 v12, v16, v51
	s_wait_loadcnt 0xc
	v_mul_f32_e32 v8, v19, v53
	v_dual_mul_f32 v9, v18, v53 :: v_dual_fmac_f32 v0, v16, v50
	v_fma_f32 v11, v13, v58, -v11
	v_fma_f32 v1, v17, v50, -v12
	s_delay_alu instid0(VALU_DEP_4) | instskip(NEXT) | instid1(VALU_DEP_4)
	v_fmac_f32_e32 v8, v18, v52
	v_fma_f32 v9, v19, v52, -v9
	s_wait_loadcnt 0xa
	scratch_store_b64 off, v[54:55], off offset:176 ; 8-byte Folded Spill
	v_mul_f32_e32 v12, v21, v55
	v_mul_f32_e32 v13, v20, v55
	ds_store_2addr_b64 v25, v[4:5], v[0:1] offset0:65 offset1:190
	ds_store_2addr_b64 v24, v[10:11], v[8:9] offset0:122 offset1:247
	s_wait_loadcnt 0x5
	v_mul_f32_e32 v5, v28, v49
	v_mul_f32_e32 v4, v29, v49
	v_add_co_u32 v14, vcc_lo, v26, s12
	v_add_nc_u32_e32 v34, 0x3000, v196
	s_wait_alu 0xfffd
	v_add_co_ci_u32_e32 v15, vcc_lo, s13, v27, vcc_lo
	v_fmac_f32_e32 v12, v20, v54
	v_fma_f32 v13, v21, v54, -v13
	v_fma_f32 v5, v29, v48, -v5
	v_fmac_f32_e32 v4, v28, v48
	s_clause 0x1
	scratch_store_b64 off, v[56:57], off offset:152
	scratch_store_b64 off, v[48:49], off offset:96
	s_clause 0x5
	global_load_b64 v[32:33], v196, s[8:9] offset:5000
	global_load_b64 v[26:27], v196, s[8:9] offset:6000
	;; [unrolled: 1-line block ×6, first 2 shown]
	ds_store_2addr_b64 v34, v[12:13], v[4:5] offset0:89 offset1:214
	s_wait_loadcnt 0x9
	v_mul_f32_e32 v4, v3, v41
	global_load_b64 v[10:11], v[14:15], off
	v_mul_f32_e32 v16, v2, v41
	v_add_co_u32 v8, vcc_lo, v14, s4
	v_fmac_f32_e32 v4, v2, v40
	s_wait_alu 0xfffd
	v_add_co_ci_u32_e32 v9, vcc_lo, s5, v15, vcc_lo
	v_fma_f32 v5, v3, v40, -v16
	v_mul_f32_e32 v1, v22, v57
	v_mul_f32_e32 v0, v23, v57
	v_add_nc_u32_e32 v12, 0x5800, v196
	s_wait_loadcnt 0x9
	s_clause 0x1
	scratch_store_b64 off, v[36:37], off offset:104
	scratch_store_b64 off, v[40:41], off offset:160
	v_fma_f32 v1, v23, v56, -v1
	v_fmac_f32_e32 v0, v22, v56
	s_wait_loadcnt 0x8
	v_mul_f32_e32 v2, v7, v37
	v_mul_f32_e32 v3, v6, v37
	s_delay_alu instid0(VALU_DEP_2) | instskip(SKIP_1) | instid1(VALU_DEP_3)
	v_fmac_f32_e32 v2, v6, v36
	v_add_co_u32 v6, vcc_lo, v8, s4
	v_fma_f32 v3, v7, v36, -v3
	s_wait_alu 0xfffd
	v_add_co_ci_u32_e32 v7, vcc_lo, s5, v9, vcc_lo
	global_load_b64 v[8:9], v[8:9], off
	s_wait_loadcnt 0x8
	scratch_store_b64 off, v[30:31], off offset:112 ; 8-byte Folded Spill
	ds_store_2addr_b64 v12, v[0:1], v[2:3] offset0:59 offset1:184
	v_add_nc_u32_e32 v12, 0xc00, v196
	v_add_co_u32 v2, vcc_lo, v6, s12
	s_wait_alu 0xfffd
	v_add_co_ci_u32_e32 v3, vcc_lo, s13, v7, vcc_lo
	s_delay_alu instid0(VALU_DEP_3) | instskip(NEXT) | instid1(VALU_DEP_1)
	v_mov_b32_e32 v23, v12
	v_mov_b32_e32 v201, v23
	s_wait_loadcnt 0x7
	scratch_store_b64 off, v[32:33], off offset:120 ; 8-byte Folded Spill
	s_wait_loadcnt 0x1
	v_mul_f32_e32 v1, v10, v33
	v_mul_f32_e32 v0, v11, v33
	s_delay_alu instid0(VALU_DEP_2) | instskip(NEXT) | instid1(VALU_DEP_2)
	v_fma_f32 v1, v11, v32, -v1
	v_fmac_f32_e32 v0, v10, v32
	ds_store_2addr_b64 v12, v[4:5], v[0:1] offset0:116 offset1:241
	v_add_co_u32 v4, vcc_lo, v2, s4
	s_wait_alu 0xfffd
	v_add_co_ci_u32_e32 v5, vcc_lo, s5, v3, vcc_lo
	s_wait_loadcnt 0x0
	v_mul_f32_e32 v10, v8, v31
	v_mul_f32_e32 v0, v9, v31
	s_delay_alu instid0(VALU_DEP_2) | instskip(NEXT) | instid1(VALU_DEP_2)
	v_fma_f32 v1, v9, v30, -v10
	v_fmac_f32_e32 v0, v8, v30
	global_load_b64 v[8:9], v[4:5], off
	global_load_b64 v[21:22], v196, s[8:9] offset:16000
	s_wait_loadcnt 0x0
	v_mul_f32_e32 v10, v8, v22
	scratch_store_b64 off, v[21:22], off offset:64 ; 8-byte Folded Spill
	s_clause 0x2
	global_load_b64 v[15:16], v196, s[8:9] offset:17000
	global_load_b64 v[11:12], v196, s[8:9] offset:18000
	;; [unrolled: 1-line block ×3, first 2 shown]
	global_load_b64 v[2:3], v[2:3], off
	s_clause 0x2
	scratch_store_b64 off, v[28:29], off offset:136
	scratch_store_b64 off, v[26:27], off offset:128
	;; [unrolled: 1-line block ×3, first 2 shown]
	v_fma_f32 v10, v9, v21, -v10
	v_mul_f32_e32 v9, v9, v22
	s_clause 0x1
	scratch_store_b64 off, v[19:20], off offset:40
	scratch_store_b64 off, v[17:18], off offset:56
	v_dual_fmac_f32 v9, v8, v21 :: v_dual_add_nc_u32 v8, 0x3800, v196
	v_add_nc_u32_e32 v21, 0x5c00, v196
	ds_store_2addr_b64 v8, v[0:1], v[9:10] offset0:83 offset1:208
	v_add_co_u32 v0, vcc_lo, v4, s4
	s_wait_alu 0xfffd
	v_add_co_ci_u32_e32 v1, vcc_lo, s5, v5, vcc_lo
	global_load_b64 v[4:5], v[6:7], off
	v_mov_b32_e32 v92, v21
	global_load_b64 v[7:8], v[0:1], off
	v_add_co_u32 v0, vcc_lo, v0, s12
	s_wait_alu 0xfffd
	v_add_co_ci_u32_e32 v1, vcc_lo, s13, v1, vcc_lo
	s_wait_loadcnt 0x5
	scratch_store_b64 off, v[15:16], off offset:80 ; 8-byte Folded Spill
	s_wait_loadcnt 0x4
	scratch_store_b64 off, v[11:12], off offset:8 ; 8-byte Folded Spill
	s_wait_loadcnt 0x1
	v_mul_f32_e32 v6, v4, v29
	s_delay_alu instid0(VALU_DEP_1) | instskip(SKIP_1) | instid1(VALU_DEP_1)
	v_fma_f32 v6, v5, v28, -v6
	v_mul_f32_e32 v5, v5, v29
	v_fmac_f32_e32 v5, v4, v28
	s_wait_loadcnt 0x0
	v_mul_f32_e32 v4, v7, v20
	s_delay_alu instid0(VALU_DEP_1) | instskip(SKIP_2) | instid1(VALU_DEP_1)
	v_fma_f32 v9, v8, v19, -v4
	v_mul_f32_e32 v8, v8, v20
	v_add_nc_u32_e32 v4, 0x6000, v196
	v_dual_fmac_f32 v8, v7, v19 :: v_dual_mov_b32 v199, v4
	ds_store_2addr_b64 v4, v[5:6], v[8:9] offset0:53 offset1:178
	global_load_b64 v[5:6], v[0:1], off
	v_mul_f32_e32 v4, v2, v27
	v_add_co_u32 v0, vcc_lo, v0, s4
	s_wait_alu 0xfffd
	v_add_co_ci_u32_e32 v1, vcc_lo, s5, v1, vcc_lo
	s_delay_alu instid0(VALU_DEP_3) | instskip(SKIP_2) | instid1(VALU_DEP_1)
	v_fma_f32 v4, v3, v26, -v4
	v_mul_f32_e32 v3, v3, v27
	s_wait_loadcnt 0x0
	v_dual_fmac_f32 v3, v2, v26 :: v_dual_mul_f32 v2, v5, v25
	s_delay_alu instid0(VALU_DEP_1) | instskip(SKIP_3) | instid1(VALU_DEP_3)
	v_fma_f32 v7, v6, v24, -v2
	v_mul_f32_e32 v6, v6, v25
	v_add_nc_u32_e32 v2, 0x1400, v196
	v_add_nc_u32_e32 v25, 0x6400, v196
	v_fmac_f32_e32 v6, v5, v24
	s_delay_alu instid0(VALU_DEP_3) | instskip(NEXT) | instid1(VALU_DEP_1)
	v_mov_b32_e32 v22, v2
	v_dual_mov_b32 v90, v25 :: v_dual_mov_b32 v93, v22
	ds_store_2addr_b64 v2, v[3:4], v[6:7] offset0:110 offset1:235
	v_add_co_u32 v2, vcc_lo, v0, s4
	s_wait_alu 0xfffd
	v_add_co_ci_u32_e32 v3, vcc_lo, s5, v1, vcc_lo
	global_load_b64 v[0:1], v[0:1], off
	s_wait_loadcnt 0x0
	v_mul_f32_e32 v4, v0, v16
	s_delay_alu instid0(VALU_DEP_1) | instskip(SKIP_1) | instid1(VALU_DEP_1)
	v_fma_f32 v5, v1, v15, -v4
	v_mul_f32_e32 v4, v1, v16
	v_fmac_f32_e32 v4, v0, v15
	v_add_co_u32 v0, vcc_lo, v2, s12
	s_wait_alu 0xfffd
	v_add_co_ci_u32_e32 v1, vcc_lo, s13, v3, vcc_lo
	global_load_b64 v[2:3], v[2:3], off
	v_add_co_u32 v6, vcc_lo, v0, s4
	s_wait_alu 0xfffd
	v_add_co_ci_u32_e32 v7, vcc_lo, s5, v1, vcc_lo
	global_load_b64 v[8:9], v[6:7], off
	s_wait_loadcnt 0x0
	v_mul_f32_e32 v10, v8, v12
	s_delay_alu instid0(VALU_DEP_1) | instskip(SKIP_1) | instid1(VALU_DEP_1)
	v_fma_f32 v10, v9, v11, -v10
	v_mul_f32_e32 v9, v9, v12
	v_dual_fmac_f32 v9, v8, v11 :: v_dual_add_nc_u32 v8, 0x4000, v196
	ds_store_2addr_b64 v8, v[4:5], v[9:10] offset0:77 offset1:202
	v_add_co_u32 v4, vcc_lo, v6, s4
	v_mul_f32_e32 v6, v2, v18
	s_wait_alu 0xfffd
	v_add_co_ci_u32_e32 v5, vcc_lo, s5, v7, vcc_lo
	s_delay_alu instid0(VALU_DEP_2) | instskip(SKIP_1) | instid1(VALU_DEP_1)
	v_fma_f32 v7, v3, v17, -v6
	v_mul_f32_e32 v6, v3, v18
	v_fmac_f32_e32 v6, v2, v17
	global_load_b64 v[2:3], v[4:5], off
	s_clause 0x1
	global_load_b64 v[15:16], v196, s[8:9] offset:28000
	global_load_b64 v[10:11], v196, s[8:9] offset:29000
	s_wait_loadcnt 0x1
	v_mul_f32_e32 v8, v2, v16
	scratch_store_b64 off, v[15:16], off offset:16 ; 8-byte Folded Spill
	v_fma_f32 v9, v3, v15, -v8
	v_mul_f32_e32 v8, v3, v16
	s_delay_alu instid0(VALU_DEP_1)
	v_fmac_f32_e32 v8, v2, v15
	v_add_nc_u32_e32 v2, 0x6800, v196
	ds_store_2addr_b64 v2, v[6:7], v[8:9] offset0:47 offset1:172
	global_load_b64 v[0:1], v[0:1], off
	global_load_b64 v[6:7], v196, s[8:9] offset:8000
	v_add_co_u32 v2, vcc_lo, v4, s12
	s_wait_alu 0xfffd
	v_add_co_ci_u32_e32 v3, vcc_lo, s13, v5, vcc_lo
	v_add_nc_u32_e32 v8, 0x2400, v196
	s_clause 0x1
	scratch_store_b64 off, v[46:47], off offset:48
	scratch_store_b64 off, v[13:14], off offset:32
	s_wait_loadcnt 0x2
	scratch_store_b64 off, v[10:11], off offset:24 ; 8-byte Folded Spill
	v_mov_b32_e32 v88, v8
	s_wait_loadcnt 0x0
	v_mul_f32_e32 v4, v0, v7
	scratch_store_b64 off, v[6:7], off offset:72 ; 8-byte Folded Spill
	v_fma_f32 v5, v1, v6, -v4
	v_mul_f32_e32 v4, v1, v7
	s_delay_alu instid0(VALU_DEP_1) | instskip(SKIP_3) | instid1(VALU_DEP_1)
	v_fmac_f32_e32 v4, v0, v6
	global_load_b64 v[0:1], v[2:3], off
	s_wait_loadcnt 0x0
	v_mul_f32_e32 v6, v0, v47
	v_fma_f32 v7, v1, v46, -v6
	v_mul_f32_e32 v6, v1, v47
	s_delay_alu instid0(VALU_DEP_1)
	v_fmac_f32_e32 v6, v0, v46
	v_add_nc_u32_e32 v0, 0x1c00, v196
	ds_store_2addr_b64 v0, v[4:5], v[6:7] offset0:104 offset1:229
	v_mov_b32_e32 v26, v0
	v_add_co_u32 v0, vcc_lo, v2, s4
	s_wait_alu 0xfffd
	v_add_co_ci_u32_e32 v1, vcc_lo, s5, v3, vcc_lo
	s_delay_alu instid0(VALU_DEP_3) | instskip(NEXT) | instid1(VALU_DEP_3)
	v_mov_b32_e32 v108, v26
	v_add_co_u32 v2, vcc_lo, v0, s4
	s_wait_alu 0xfffd
	s_delay_alu instid0(VALU_DEP_3) | instskip(SKIP_4) | instid1(VALU_DEP_1)
	v_add_co_ci_u32_e32 v3, vcc_lo, s5, v1, vcc_lo
	global_load_b64 v[0:1], v[0:1], off
	v_cmp_gt_u16_e64 vcc_lo, 0x4b, v160
	s_wait_loadcnt 0x0
	v_mul_f32_e32 v4, v0, v14
	v_fma_f32 v5, v1, v13, -v4
	v_mul_f32_e32 v4, v1, v14
	s_delay_alu instid0(VALU_DEP_1) | instskip(SKIP_3) | instid1(VALU_DEP_1)
	v_fmac_f32_e32 v4, v0, v13
	global_load_b64 v[0:1], v[2:3], off
	v_add_nc_u32_e32 v13, 0x4c00, v196
	s_wait_loadcnt 0x0
	v_dual_mov_b32 v89, v13 :: v_dual_mul_f32 v2, v0, v11
	s_delay_alu instid0(VALU_DEP_1) | instskip(SKIP_1) | instid1(VALU_DEP_1)
	v_fma_f32 v2, v1, v10, -v2
	v_mul_f32_e32 v1, v1, v11
	v_fmac_f32_e32 v1, v0, v10
	ds_store_b64 v196, v[4:5] offset:19000
	ds_store_b64 v196, v[1:2] offset:29000
	s_load_b128 s[4:7], s[6:7], 0x0
	global_wb scope:SCOPE_SE
	s_wait_storecnt_dscnt 0x0
	s_wait_kmcnt 0x0
	s_barrier_signal -1
	s_barrier_wait -1
	global_inv scope:SCOPE_SE
	ds_load_2addr_b64 v[0:3], v196 offset1:125
	ds_load_2addr_b64 v[4:7], v8 offset0:98 offset1:223
	ds_load_2addr_b64 v[8:11], v13 offset0:68 offset1:193
	v_mov_b32_e32 v198, v34
	s_mul_u64 s[2:3], s[4:5], s[2:3]
	s_wait_dscnt 0x1
	v_add_f32_e32 v12, v0, v4
	s_wait_dscnt 0x0
	v_dual_add_f32 v44, v4, v8 :: v_dual_sub_f32 v45, v5, v9
	v_add_f32_e32 v13, v1, v5
	v_dual_add_f32 v46, v5, v9 :: v_dual_sub_f32 v47, v4, v8
	v_dual_add_f32 v4, v2, v6 :: v_dual_add_f32 v5, v3, v7
	v_add_f32_e32 v28, v12, v8
	v_add_nc_u32_e32 v12, 0x2c00, v196
	v_dual_add_f32 v48, v6, v10 :: v_dual_sub_f32 v49, v7, v11
	v_dual_add_f32 v50, v7, v11 :: v_dual_sub_f32 v51, v6, v10
	v_dual_add_f32 v29, v13, v9 :: v_dual_add_f32 v30, v4, v10
	v_add_f32_e32 v31, v5, v11
	ds_load_2addr_b64 v[4:7], v204 offset0:122 offset1:247
	ds_load_2addr_b64 v[8:11], v12 offset0:92 offset1:217
	v_mov_b32_e32 v94, v12
	ds_load_2addr_b64 v[12:15], v220 offset0:62 offset1:187
	v_fma_f32 v0, -0.5, v44, v0
	v_fma_f32 v1, -0.5, v46, v1
	;; [unrolled: 1-line block ×3, first 2 shown]
	v_and_b32_e32 v44, 0xff, v161
	s_wait_dscnt 0x1
	v_dual_add_f32 v16, v4, v8 :: v_dual_add_f32 v17, v5, v9
	s_wait_dscnt 0x0
	v_dual_add_f32 v52, v8, v12 :: v_dual_sub_f32 v53, v9, v13
	v_dual_add_f32 v54, v9, v13 :: v_dual_sub_f32 v55, v8, v12
	v_dual_add_f32 v8, v6, v10 :: v_dual_add_f32 v9, v7, v11
	v_dual_add_f32 v56, v10, v14 :: v_dual_sub_f32 v57, v11, v15
	v_dual_add_f32 v58, v11, v15 :: v_dual_sub_f32 v59, v10, v14
	v_dual_add_f32 v32, v16, v12 :: v_dual_add_f32 v33, v17, v13
	s_delay_alu instid0(VALU_DEP_4)
	v_dual_add_f32 v34, v8, v14 :: v_dual_add_f32 v35, v9, v15
	ds_load_2addr_b64 v[8:11], v23 offset0:116 offset1:241
	ds_load_2addr_b64 v[12:15], v207 offset0:86 offset1:211
	;; [unrolled: 1-line block ×3, first 2 shown]
	v_fma_f32 v6, -0.5, v56, v6
	s_wait_dscnt 0x1
	v_dual_fmac_f32 v7, -0.5, v58 :: v_dual_add_f32 v20, v8, v12
	s_wait_dscnt 0x0
	v_dual_add_f32 v60, v12, v16 :: v_dual_sub_f32 v61, v13, v17
	v_add_f32_e32 v21, v9, v13
	v_dual_add_f32 v62, v13, v17 :: v_dual_sub_f32 v63, v12, v16
	v_dual_add_f32 v12, v10, v14 :: v_dual_add_f32 v13, v11, v15
	v_add_f32_e32 v36, v20, v16
	v_add_nc_u32_e32 v20, 0x3c00, v196
	v_dual_add_f32 v64, v14, v18 :: v_dual_sub_f32 v65, v15, v19
	v_dual_add_f32 v66, v15, v19 :: v_dual_sub_f32 v67, v14, v18
	v_dual_add_f32 v37, v21, v17 :: v_dual_add_f32 v38, v12, v18
	v_add_f32_e32 v39, v13, v19
	ds_load_2addr_b64 v[12:15], v22 offset0:110 offset1:235
	ds_load_2addr_b64 v[16:19], v20 offset0:80 offset1:205
	v_mov_b32_e32 v202, v20
	ds_load_2addr_b64 v[20:23], v25 offset0:50 offset1:175
	v_fmac_f32_e32 v11, -0.5, v66
	v_fmac_f32_e32 v3, -0.5, v50
	v_fma_f32 v10, -0.5, v64, v10
	s_wait_dscnt 0x1
	v_dual_add_f32 v24, v12, v16 :: v_dual_add_f32 v25, v13, v17
	s_wait_dscnt 0x0
	v_dual_add_f32 v68, v16, v20 :: v_dual_sub_f32 v69, v17, v21
	v_dual_add_f32 v70, v17, v21 :: v_dual_sub_f32 v71, v16, v20
	v_dual_add_f32 v16, v14, v18 :: v_dual_add_f32 v17, v15, v19
	v_dual_add_f32 v72, v18, v22 :: v_dual_sub_f32 v73, v19, v23
	v_dual_add_f32 v74, v19, v23 :: v_dual_sub_f32 v75, v18, v22
	v_dual_add_f32 v40, v24, v20 :: v_dual_add_f32 v41, v25, v21
	s_delay_alu instid0(VALU_DEP_4)
	v_dual_add_f32 v42, v16, v22 :: v_dual_add_f32 v43, v17, v23
	ds_load_2addr_b64 v[16:19], v26 offset0:104 offset1:229
	ds_load_2addr_b64 v[20:23], v197 offset0:74 offset1:199
	;; [unrolled: 1-line block ×3, first 2 shown]
	v_fma_f32 v14, -0.5, v72, v14
	v_fmac_f32_e32 v15, -0.5, v74
	s_wait_dscnt 0x1
	v_add_f32_e32 v82, v18, v22
	s_wait_dscnt 0x0
	v_add_f32_e32 v83, v22, v26
	v_dual_sub_f32 v87, v22, v26 :: v_dual_add_f32 v76, v16, v20
	s_delay_alu instid0(VALU_DEP_3) | instskip(SKIP_3) | instid1(VALU_DEP_3)
	v_dual_add_f32 v79, v17, v21 :: v_dual_add_f32 v22, v82, v26
	v_mul_lo_u16 v26, v160, 3
	v_dual_add_f32 v77, v20, v24 :: v_dual_sub_f32 v78, v21, v25
	v_dual_add_f32 v80, v21, v25 :: v_dual_sub_f32 v81, v20, v24
	v_and_b32_e32 v26, 0xffff, v26
	v_dual_add_f32 v20, v76, v24 :: v_dual_add_f32 v21, v79, v25
	v_fmamk_f32 v24, v45, 0x3f5db3d7, v0
	s_delay_alu instid0(VALU_DEP_3)
	v_dual_fmamk_f32 v25, v47, 0xbf5db3d7, v1 :: v_dual_lshlrev_b32 v26, 3, v26
	v_fmac_f32_e32 v0, 0xbf5db3d7, v45
	v_fmac_f32_e32 v1, 0x3f5db3d7, v47
	v_add_f32_e32 v86, v23, v27
	v_sub_f32_e32 v84, v23, v27
	scratch_store_b32 off, v26, off offset:284 ; 4-byte Folded Spill
	global_wb scope:SCOPE_SE
	s_wait_storecnt 0x0
	s_barrier_signal -1
	s_barrier_wait -1
	global_inv scope:SCOPE_SE
	ds_store_2addr_b64 v26, v[28:29], v[24:25] offset1:1
	ds_store_b64 v26, v[0:1] offset:16
	v_mul_u32_u24_e32 v24, 3, v161
	v_fmamk_f32 v0, v49, 0x3f5db3d7, v2
	v_dual_fmamk_f32 v1, v51, 0xbf5db3d7, v3 :: v_dual_fmac_f32 v2, 0xbf5db3d7, v49
	s_delay_alu instid0(VALU_DEP_3)
	v_dual_fmac_f32 v3, 0x3f5db3d7, v51 :: v_dual_lshlrev_b32 v24, 3, v24
	v_add_f32_e32 v85, v19, v23
	v_fma_f32 v18, -0.5, v83, v18
	v_dual_fmac_f32 v19, -0.5, v86 :: v_dual_mov_b32 v86, v93
	scratch_store_b32 off, v24, off offset:280 ; 4-byte Folded Spill
	ds_store_2addr_b64 v24, v[30:31], v[0:1] offset1:1
	ds_store_b64 v24, v[2:3] offset:16
	v_fma_f32 v0, -0.5, v52, v4
	v_fma_f32 v1, -0.5, v54, v5
	v_mul_u32_u24_e32 v4, 3, v168
	v_add_f32_e32 v23, v85, v27
	s_delay_alu instid0(VALU_DEP_4) | instskip(NEXT) | instid1(VALU_DEP_3)
	v_fmamk_f32 v2, v53, 0x3f5db3d7, v0
	v_dual_fmamk_f32 v3, v55, 0xbf5db3d7, v1 :: v_dual_lshlrev_b32 v4, 3, v4
	v_fmac_f32_e32 v0, 0xbf5db3d7, v53
	v_dual_fmac_f32 v1, 0x3f5db3d7, v55 :: v_dual_mov_b32 v76, v88
	scratch_store_b32 off, v4, off offset:276 ; 4-byte Folded Spill
	ds_store_2addr_b64 v4, v[32:33], v[2:3] offset1:1
	ds_store_b64 v4, v[0:1] offset:16
	v_mul_u32_u24_e32 v2, 3, v172
	v_fmamk_f32 v0, v57, 0x3f5db3d7, v6
	v_dual_fmamk_f32 v1, v59, 0xbf5db3d7, v7 :: v_dual_fmac_f32 v6, 0xbf5db3d7, v57
	s_delay_alu instid0(VALU_DEP_3)
	v_dual_fmac_f32 v7, 0x3f5db3d7, v59 :: v_dual_lshlrev_b32 v2, 3, v2
	v_mul_u32_u24_e32 v4, 3, v167
	scratch_store_b32 off, v2, off offset:272 ; 4-byte Folded Spill
	ds_store_2addr_b64 v2, v[34:35], v[0:1] offset1:1
	ds_store_b64 v2, v[6:7] offset:16
	v_fma_f32 v0, -0.5, v60, v8
	v_fma_f32 v1, -0.5, v62, v9
	v_lshlrev_b32_e32 v4, 3, v4
	v_and_b32_e32 v60, 0xffff, v168
	s_delay_alu instid0(VALU_DEP_4) | instskip(NEXT) | instid1(VALU_DEP_4)
	v_fmamk_f32 v2, v61, 0x3f5db3d7, v0
	v_dual_fmamk_f32 v3, v63, 0xbf5db3d7, v1 :: v_dual_fmac_f32 v0, 0xbf5db3d7, v61
	v_fmac_f32_e32 v1, 0x3f5db3d7, v63
	scratch_store_b32 off, v4, off offset:268 ; 4-byte Folded Spill
	ds_store_2addr_b64 v4, v[36:37], v[2:3] offset1:1
	ds_store_b64 v4, v[0:1] offset:16
	v_mul_u32_u24_e32 v2, 3, v213
	v_fmamk_f32 v0, v65, 0x3f5db3d7, v10
	v_fmamk_f32 v1, v67, 0xbf5db3d7, v11
	v_add_nc_u32_e32 v4, 0x2ee, v162
	v_fmac_f32_e32 v10, 0xbf5db3d7, v65
	v_dual_fmac_f32 v11, 0x3f5db3d7, v67 :: v_dual_lshlrev_b32 v2, 3, v2
	s_delay_alu instid0(VALU_DEP_3)
	v_mul_u32_u24_e32 v4, 3, v4
	scratch_store_b32 off, v2, off offset:264 ; 4-byte Folded Spill
	ds_store_2addr_b64 v2, v[38:39], v[0:1] offset1:1
	ds_store_b64 v2, v[10:11] offset:16
	v_fma_f32 v0, -0.5, v68, v12
	v_fma_f32 v1, -0.5, v70, v13
	v_lshlrev_b32_e32 v4, 3, v4
	s_delay_alu instid0(VALU_DEP_3) | instskip(NEXT) | instid1(VALU_DEP_3)
	v_fmamk_f32 v2, v69, 0x3f5db3d7, v0
	v_dual_fmamk_f32 v3, v71, 0xbf5db3d7, v1 :: v_dual_fmac_f32 v0, 0xbf5db3d7, v69
	v_fmac_f32_e32 v1, 0x3f5db3d7, v71
	scratch_store_b32 off, v4, off offset:260 ; 4-byte Folded Spill
	ds_store_2addr_b64 v4, v[40:41], v[2:3] offset1:1
	ds_store_b64 v4, v[0:1] offset:16
	v_add_nc_u32_e32 v2, 0x36b, v162
	v_fmamk_f32 v0, v73, 0x3f5db3d7, v14
	v_fmamk_f32 v1, v75, 0xbf5db3d7, v15
	v_add_nc_u32_e32 v4, 0x3e8, v162
	v_fmac_f32_e32 v14, 0xbf5db3d7, v73
	v_mul_u32_u24_e32 v2, 3, v2
	v_fmac_f32_e32 v15, 0x3f5db3d7, v75
	v_mov_b32_e32 v79, v94
	v_mul_u32_u24_e32 v4, 3, v4
	s_delay_alu instid0(VALU_DEP_4) | instskip(NEXT) | instid1(VALU_DEP_2)
	v_lshlrev_b32_e32 v2, 3, v2
	v_lshlrev_b32_e32 v4, 3, v4
	scratch_store_b32 off, v2, off offset:256 ; 4-byte Folded Spill
	ds_store_2addr_b64 v2, v[42:43], v[0:1] offset1:1
	ds_store_b64 v2, v[14:15] offset:16
	v_fma_f32 v0, -0.5, v77, v16
	v_fma_f32 v1, -0.5, v80, v17
	scratch_store_b32 off, v4, off offset:252 ; 4-byte Folded Spill
	v_dual_mov_b32 v77, v89 :: v_dual_fmamk_f32 v2, v78, 0x3f5db3d7, v0
	v_dual_fmamk_f32 v3, v81, 0xbf5db3d7, v1 :: v_dual_fmac_f32 v0, 0xbf5db3d7, v78
	v_fmac_f32_e32 v1, 0x3f5db3d7, v81
	ds_store_2addr_b64 v4, v[20:21], v[2:3] offset1:1
	ds_store_b64 v4, v[0:1] offset:16
	v_add_nc_u32_e32 v2, 0x465, v162
	v_fmamk_f32 v0, v84, 0x3f5db3d7, v18
	v_fmamk_f32 v1, v87, 0xbf5db3d7, v19
	v_and_b32_e32 v20, 0xff, v160
	v_fmac_f32_e32 v18, 0xbf5db3d7, v84
	v_mul_u32_u24_e32 v2, 3, v2
	v_fmac_f32_e32 v19, 0x3f5db3d7, v87
	v_dual_mov_b32 v84, v92 :: v_dual_and_b32 v21, 0xffff, v172
	s_delay_alu instid0(VALU_DEP_3)
	v_lshlrev_b32_e32 v2, 3, v2
	scratch_store_b32 off, v2, off offset:288 ; 4-byte Folded Spill
	ds_store_2addr_b64 v2, v[22:23], v[0:1] offset1:1
	ds_store_b64 v2, v[18:19] offset:16
	v_mul_lo_u16 v0, 0xab, v20
	global_wb scope:SCOPE_SE
	s_wait_storecnt_dscnt 0x0
	s_barrier_signal -1
	s_barrier_wait -1
	global_inv scope:SCOPE_SE
	v_lshrrev_b16 v16, 9, v0
	v_mul_lo_u16 v0, 0xab, v44
	v_and_b32_e32 v22, 0xffff, v167
	v_dual_mov_b32 v78, v90 :: v_dual_and_b32 v23, 0xffff, v213
	s_delay_alu instid0(VALU_DEP_3) | instskip(SKIP_1) | instid1(VALU_DEP_2)
	v_lshrrev_b16 v24, 9, v0
	v_mul_lo_u16 v0, v16, 3
	v_mul_lo_u16 v1, v24, 3
	s_delay_alu instid0(VALU_DEP_2) | instskip(NEXT) | instid1(VALU_DEP_2)
	v_sub_nc_u16 v0, v160, v0
	v_sub_nc_u16 v1, v161, v1
	s_delay_alu instid0(VALU_DEP_2) | instskip(NEXT) | instid1(VALU_DEP_2)
	v_and_b32_e32 v17, 0xff, v0
	v_and_b32_e32 v25, 0xff, v1
	s_delay_alu instid0(VALU_DEP_2)
	v_lshlrev_b32_e32 v0, 5, v17
	s_clause 0x1
	global_load_b128 v[209:212], v0, s[10:11]
	global_load_b128 v[30:33], v0, s[10:11] offset:16
	ds_load_2addr_b64 v[0:3], v93 offset0:110 offset1:235
	s_wait_loadcnt_dscnt 0x100
	v_mul_f32_e32 v4, v1, v210
	v_mul_f32_e32 v34, v0, v210
	s_delay_alu instid0(VALU_DEP_2)
	v_fma_f32 v35, v0, v209, -v4
	v_lshlrev_b32_e32 v0, 5, v25
	s_clause 0x1
	global_load_b128 v[192:195], v0, s[10:11]
	global_load_b128 v[10:13], v0, s[10:11] offset:16
	v_fmac_f32_e32 v34, v1, v209
	s_wait_loadcnt 0x2
	scratch_store_b128 off, v[30:33], off offset:532 ; 16-byte Folded Spill
	s_wait_loadcnt 0x1
	v_mul_f32_e32 v0, v3, v193
	v_mul_f32_e32 v26, v2, v193
	s_wait_loadcnt 0x0
	scratch_store_b128 off, v[10:13], off offset:500 ; 16-byte Folded Spill
	v_fma_f32 v27, v2, v192, -v0
	v_fmac_f32_e32 v26, v3, v192
	ds_load_2addr_b64 v[2:5], v94 offset0:92 offset1:217
	s_wait_dscnt 0x0
	v_mul_f32_e32 v0, v3, v212
	v_mul_f32_e32 v28, v4, v195
	s_delay_alu instid0(VALU_DEP_2) | instskip(SKIP_2) | instid1(VALU_DEP_4)
	v_fma_f32 v1, v2, v211, -v0
	v_mul_f32_e32 v0, v2, v212
	v_mul_f32_e32 v2, v5, v195
	v_fmac_f32_e32 v28, v5, v194
	s_delay_alu instid0(VALU_DEP_3) | instskip(NEXT) | instid1(VALU_DEP_3)
	v_fmac_f32_e32 v0, v3, v211
	v_fma_f32 v29, v4, v194, -v2
	ds_load_2addr_b64 v[4:7], v197 offset0:74 offset1:199
	s_wait_dscnt 0x0
	v_mul_f32_e32 v2, v5, v31
	s_delay_alu instid0(VALU_DEP_1) | instskip(SKIP_2) | instid1(VALU_DEP_3)
	v_fma_f32 v3, v4, v30, -v2
	v_mul_f32_e32 v2, v4, v31
	v_mul_f32_e32 v4, v7, v11
	v_sub_f32_e32 v119, v1, v3
	s_delay_alu instid0(VALU_DEP_3) | instskip(SKIP_1) | instid1(VALU_DEP_4)
	v_fmac_f32_e32 v2, v5, v30
	v_mul_f32_e32 v30, v6, v11
	v_fma_f32 v31, v6, v10, -v4
	s_delay_alu instid0(VALU_DEP_3) | instskip(NEXT) | instid1(VALU_DEP_3)
	v_sub_f32_e32 v118, v0, v2
	v_fmac_f32_e32 v30, v7, v10
	ds_load_2addr_b64 v[6:9], v92 offset0:56 offset1:181
	s_wait_dscnt 0x0
	v_mul_f32_e32 v4, v7, v33
	s_delay_alu instid0(VALU_DEP_1) | instskip(SKIP_2) | instid1(VALU_DEP_3)
	v_fma_f32 v5, v6, v32, -v4
	v_mul_f32_e32 v4, v6, v33
	v_mul_f32_e32 v6, v9, v13
	v_sub_f32_e32 v117, v35, v5
	s_delay_alu instid0(VALU_DEP_3) | instskip(SKIP_1) | instid1(VALU_DEP_4)
	v_fmac_f32_e32 v4, v7, v32
	v_mul_f32_e32 v32, v8, v13
	v_fma_f32 v33, v8, v12, -v6
	v_dual_sub_f32 v7, v5, v3 :: v_dual_and_b32 v6, 0xffff, v16
	s_delay_alu instid0(VALU_DEP_4) | instskip(NEXT) | instid1(VALU_DEP_4)
	v_sub_f32_e32 v116, v34, v4
	v_fmac_f32_e32 v32, v9, v12
	ds_load_2addr_b64 v[10:13], v196 offset1:125
	v_mul_u32_u24_e32 v6, 15, v6
	s_delay_alu instid0(VALU_DEP_1) | instskip(SKIP_1) | instid1(VALU_DEP_1)
	v_add_lshl_u32 v64, v6, v17, 3
	v_sub_f32_e32 v6, v35, v1
	v_add_f32_e32 v59, v6, v7
	v_dual_add_f32 v6, v1, v3 :: v_dual_add_f32 v7, v0, v2
	s_wait_dscnt 0x0
	s_delay_alu instid0(VALU_DEP_1) | instskip(NEXT) | instid1(VALU_DEP_2)
	v_fma_f32 v14, -0.5, v6, v10
	v_fma_f32 v15, -0.5, v7, v11
	v_dual_sub_f32 v6, v34, v0 :: v_dual_sub_f32 v7, v4, v2
	s_delay_alu instid0(VALU_DEP_3) | instskip(NEXT) | instid1(VALU_DEP_3)
	v_fmamk_f32 v61, v116, 0x3f737871, v14
	v_fmamk_f32 v62, v117, 0xbf737871, v15
	s_delay_alu instid0(VALU_DEP_3) | instskip(SKIP_1) | instid1(VALU_DEP_4)
	v_dual_fmac_f32 v14, 0xbf737871, v116 :: v_dual_add_f32 v63, v6, v7
	v_dual_add_f32 v6, v10, v35 :: v_dual_add_f32 v7, v11, v34
	v_fmac_f32_e32 v61, 0x3f167918, v118
	s_delay_alu instid0(VALU_DEP_4) | instskip(SKIP_1) | instid1(VALU_DEP_4)
	v_fmac_f32_e32 v62, 0xbf167918, v119
	v_fmac_f32_e32 v15, 0x3f737871, v117
	v_dual_add_f32 v6, v6, v1 :: v_dual_add_f32 v7, v7, v0
	v_sub_f32_e32 v1, v1, v35
	v_fmac_f32_e32 v61, 0x3e9e377a, v59
	v_fmac_f32_e32 v62, 0x3e9e377a, v63
	s_delay_alu instid0(VALU_DEP_4) | instskip(SKIP_1) | instid1(VALU_DEP_2)
	v_dual_add_f32 v6, v6, v3 :: v_dual_add_f32 v7, v7, v2
	v_dual_sub_f32 v3, v3, v5 :: v_dual_sub_f32 v2, v2, v4
	v_dual_fmac_f32 v14, 0xbf167918, v118 :: v_dual_add_f32 v57, v6, v5
	v_mul_u32_u24_e32 v6, 0xaaab, v60
	s_delay_alu instid0(VALU_DEP_4) | instskip(SKIP_2) | instid1(VALU_DEP_4)
	v_add_f32_e32 v58, v7, v4
	v_add_f32_e32 v5, v35, v5
	v_dual_sub_f32 v35, v0, v34 :: v_dual_add_f32 v34, v34, v4
	v_lshrrev_b32_e32 v112, 17, v6
	v_mul_u32_u24_e32 v6, 0xaaab, v21
	s_delay_alu instid0(VALU_DEP_4) | instskip(NEXT) | instid1(VALU_DEP_4)
	v_fma_f32 v0, -0.5, v5, v10
	v_dual_add_f32 v4, v35, v2 :: v_dual_add_f32 v3, v1, v3
	s_delay_alu instid0(VALU_DEP_4) | instskip(NEXT) | instid1(VALU_DEP_4)
	v_mul_lo_u16 v7, v112, 3
	v_lshrrev_b32_e32 v113, 17, v6
	v_mul_u32_u24_e32 v6, 0xaaab, v22
	v_fmamk_f32 v2, v118, 0xbf737871, v0
	v_fmac_f32_e32 v0, 0x3f737871, v118
	v_sub_nc_u16 v114, v168, v7
	v_mul_lo_u16 v7, v113, 3
	v_lshrrev_b32_e32 v8, 17, v6
	v_mul_u32_u24_e32 v6, 0xaaab, v23
	v_fma_f32 v1, -0.5, v34, v11
	v_lshlrev_b16 v16, 2, v114
	v_sub_nc_u16 v115, v172, v7
	v_mul_lo_u16 v7, v8, 3
	v_lshrrev_b32_e32 v6, 17, v6
	v_fmac_f32_e32 v2, 0x3f167918, v116
	v_and_b32_e32 v16, 0xffff, v16
	v_lshlrev_b16 v17, 2, v115
	v_sub_nc_u16 v9, v167, v7
	v_mul_lo_u16 v7, v6, 3
	v_fmac_f32_e32 v0, 0xbf167918, v116
	v_lshlrev_b32_e32 v16, 3, v16
	v_and_b32_e32 v17, 0xffff, v17
	v_lshlrev_b16 v18, 2, v9
	v_sub_nc_u16 v7, v213, v7
	v_fmac_f32_e32 v2, 0x3e9e377a, v3
	s_delay_alu instid0(VALU_DEP_4) | instskip(NEXT) | instid1(VALU_DEP_4)
	v_dual_fmac_f32 v0, 0x3e9e377a, v3 :: v_dual_lshlrev_b32 v17, 3, v17
	v_and_b32_e32 v18, 0xffff, v18
	s_delay_alu instid0(VALU_DEP_4) | instskip(SKIP_2) | instid1(VALU_DEP_4)
	v_lshlrev_b16 v19, 2, v7
	v_fmamk_f32 v3, v119, 0x3f737871, v1
	v_fmac_f32_e32 v1, 0xbf737871, v119
	v_dual_fmac_f32 v15, 0x3f167918, v119 :: v_dual_lshlrev_b32 v18, 3, v18
	s_delay_alu instid0(VALU_DEP_4) | instskip(NEXT) | instid1(VALU_DEP_4)
	v_and_b32_e32 v19, 0xffff, v19
	v_fmac_f32_e32 v3, 0xbf167918, v117
	s_delay_alu instid0(VALU_DEP_4)
	v_fmac_f32_e32 v1, 0x3f167918, v117
	v_fmac_f32_e32 v14, 0x3e9e377a, v59
	;; [unrolled: 1-line block ×3, first 2 shown]
	v_lshlrev_b32_e32 v19, 3, v19
	s_clause 0x7
	global_load_b128 v[104:107], v16, s[10:11]
	global_load_b128 v[96:99], v16, s[10:11] offset:16
	global_load_b128 v[100:103], v17, s[10:11]
	global_load_b128 v[92:95], v17, s[10:11] offset:16
	global_load_b128 v[221:224], v18, s[10:11]
	global_load_b128 v[237:240], v18, s[10:11] offset:16
	global_load_b128 v[229:232], v19, s[10:11]
	global_load_b128 v[241:244], v19, s[10:11] offset:16
	v_fmac_f32_e32 v3, 0x3e9e377a, v4
	v_fmac_f32_e32 v1, 0x3e9e377a, v4
	ds_load_2addr_b64 v[36:39], v204 offset0:122 offset1:247
	v_mov_b32_e32 v85, v108
	ds_load_2addr_b64 v[40:43], v108 offset0:104 offset1:229
	ds_load_2addr_b64 v[45:48], v207 offset0:86 offset1:211
	;; [unrolled: 1-line block ×9, first 2 shown]
	global_wb scope:SCOPE_SE
	s_wait_storecnt 0x0
	s_wait_loadcnt_dscnt 0x0
	s_barrier_signal -1
	s_barrier_wait -1
	global_inv scope:SCOPE_SE
	ds_store_2addr_b64 v64, v[2:3], v[0:1] offset0:6 offset1:9
	v_and_b32_e32 v0, 0xffff, v24
	ds_store_2addr_b64 v64, v[57:58], v[61:62] offset1:3
	v_dual_add_f32 v1, v27, v33 :: v_dual_add_f32 v4, v12, v27
	v_sub_f32_e32 v2, v31, v33
	v_mul_u32_u24_e32 v0, 15, v0
	v_dual_add_f32 v5, v13, v26 :: v_dual_sub_f32 v10, v30, v32
	v_sub_f32_e32 v11, v28, v30
	ds_store_b64 v64, v[14:15] offset:96
	v_add_lshl_u32 v57, v0, v25, 3
	v_add_f32_e32 v0, v29, v31
	v_dual_sub_f32 v14, v26, v32 :: v_dual_sub_f32 v15, v29, v31
	v_sub_f32_e32 v24, v27, v33
	v_mad_u16 v6, v6, 15, v7
	s_delay_alu instid0(VALU_DEP_4) | instskip(SKIP_2) | instid1(VALU_DEP_4)
	v_fma_f32 v0, -0.5, v0, v12
	v_fma_f32 v12, -0.5, v1, v12
	v_sub_f32_e32 v1, v29, v27
	v_dual_sub_f32 v27, v27, v29 :: v_dual_and_b32 v6, 0xffff, v6
	scratch_store_b32 off, v64, off offset:292 ; 4-byte Folded Spill
	v_mad_u16 v8, v8, 15, v9
	v_add_f32_e32 v3, v1, v2
	v_dual_add_f32 v1, v28, v30 :: v_dual_add_f32 v2, v26, v32
	v_lshlrev_b32_e32 v6, 3, v6
	s_delay_alu instid0(VALU_DEP_4) | instskip(NEXT) | instid1(VALU_DEP_3)
	v_dual_mov_b32 v87, v85 :: v_dual_and_b32 v8, 0xffff, v8
	v_fma_f32 v1, -0.5, v1, v13
	s_delay_alu instid0(VALU_DEP_4) | instskip(SKIP_1) | instid1(VALU_DEP_4)
	v_fmac_f32_e32 v13, -0.5, v2
	v_sub_f32_e32 v2, v28, v26
	v_lshlrev_b32_e32 v8, 3, v8
	s_delay_alu instid0(VALU_DEP_2) | instskip(SKIP_2) | instid1(VALU_DEP_2)
	v_add_f32_e32 v10, v2, v10
	v_fmamk_f32 v2, v11, 0xbf737871, v12
	v_fmac_f32_e32 v12, 0x3f737871, v11
	v_fmac_f32_e32 v2, 0x3f167918, v14
	s_delay_alu instid0(VALU_DEP_2) | instskip(NEXT) | instid1(VALU_DEP_2)
	v_fmac_f32_e32 v12, 0xbf167918, v14
	v_fmac_f32_e32 v2, 0x3e9e377a, v3
	s_delay_alu instid0(VALU_DEP_2) | instskip(SKIP_2) | instid1(VALU_DEP_2)
	v_fmac_f32_e32 v12, 0x3e9e377a, v3
	v_fmamk_f32 v3, v15, 0x3f737871, v13
	v_fmac_f32_e32 v13, 0xbf737871, v15
	v_fmac_f32_e32 v3, 0xbf167918, v24
	s_delay_alu instid0(VALU_DEP_2) | instskip(NEXT) | instid1(VALU_DEP_2)
	v_fmac_f32_e32 v13, 0x3f167918, v24
	v_fmac_f32_e32 v3, 0x3e9e377a, v10
	s_delay_alu instid0(VALU_DEP_2) | instskip(SKIP_3) | instid1(VALU_DEP_2)
	v_fmac_f32_e32 v13, 0x3e9e377a, v10
	ds_store_2addr_b64 v57, v[2:3], v[12:13] offset0:6 offset1:9
	v_add_f32_e32 v3, v5, v28
	v_sub_f32_e32 v5, v33, v31
	v_add_f32_e32 v3, v3, v30
	s_delay_alu instid0(VALU_DEP_2) | instskip(SKIP_2) | instid1(VALU_DEP_4)
	v_add_f32_e32 v27, v27, v5
	v_fmamk_f32 v5, v24, 0xbf737871, v1
	v_fmac_f32_e32 v1, 0x3f737871, v24
	v_add_f32_e32 v3, v3, v32
	s_delay_alu instid0(VALU_DEP_3) | instskip(NEXT) | instid1(VALU_DEP_3)
	v_fmac_f32_e32 v5, 0xbf167918, v15
	v_dual_fmac_f32 v1, 0x3f167918, v15 :: v_dual_mul_f32 v2, v41, v105
	v_mul_f32_e32 v12, v40, v105
	v_mul_f32_e32 v25, v42, v101
	;; [unrolled: 1-line block ×3, first 2 shown]
	s_delay_alu instid0(VALU_DEP_4) | instskip(SKIP_4) | instid1(VALU_DEP_4)
	v_fma_f32 v10, v40, v104, -v2
	v_mul_f32_e32 v2, v43, v101
	v_dual_fmac_f32 v12, v41, v104 :: v_dual_mul_f32 v41, v47, v103
	v_fmac_f32_e32 v25, v43, v100
	v_mul_f32_e32 v43, v49, v97
	v_fma_f32 v13, v42, v100, -v2
	s_delay_alu instid0(VALU_DEP_4) | instskip(SKIP_1) | instid1(VALU_DEP_4)
	v_dual_mul_f32 v2, v46, v107 :: v_dual_fmac_f32 v41, v48, v102
	v_fmac_f32_e32 v35, v46, v106
	v_dual_fmac_f32 v43, v50, v96 :: v_dual_mul_f32 v46, v51, v93
	s_delay_alu instid0(VALU_DEP_3) | instskip(SKIP_1) | instid1(VALU_DEP_3)
	v_fma_f32 v34, v45, v106, -v2
	v_mul_f32_e32 v2, v48, v103
	v_fmac_f32_e32 v46, v52, v92
	s_delay_alu instid0(VALU_DEP_2) | instskip(SKIP_1) | instid1(VALU_DEP_1)
	v_fma_f32 v40, v47, v102, -v2
	v_mul_f32_e32 v2, v50, v97
	v_fma_f32 v42, v49, v96, -v2
	v_mul_f32_e32 v2, v52, v93
	s_delay_alu instid0(VALU_DEP_1) | instskip(SKIP_1) | instid1(VALU_DEP_1)
	v_fma_f32 v45, v51, v92, -v2
	v_mul_f32_e32 v2, v54, v99
	v_fma_f32 v47, v53, v98, -v2
	v_mul_f32_e32 v2, v56, v95
	s_delay_alu instid0(VALU_DEP_1)
	v_fma_f32 v49, v55, v94, -v2
	v_add_f32_e32 v2, v4, v29
	v_sub_f32_e32 v4, v26, v28
	v_sub_f32_e32 v26, v32, v30
	v_mul_f32_e32 v32, v82, v232
	v_sub_f32_e32 v28, v34, v42
	v_mul_f32_e32 v30, v80, v224
	s_delay_alu instid0(VALU_DEP_4)
	v_add_f32_e32 v26, v4, v26
	v_fmamk_f32 v4, v14, 0x3f737871, v0
	v_fmac_f32_e32 v32, v83, v231
	v_fmac_f32_e32 v0, 0xbf737871, v14
	v_mul_f32_e32 v48, v53, v99
	v_add_f32_e32 v2, v2, v31
	v_fmac_f32_e32 v4, 0x3f167918, v11
	v_fmac_f32_e32 v1, 0x3e9e377a, v26
	;; [unrolled: 1-line block ×4, first 2 shown]
	v_add_f32_e32 v2, v2, v33
	v_dual_fmac_f32 v4, 0x3e9e377a, v27 :: v_dual_fmac_f32 v5, 0x3e9e377a, v26
	s_delay_alu instid0(VALU_DEP_4) | instskip(NEXT) | instid1(VALU_DEP_4)
	v_fmac_f32_e32 v0, 0x3e9e377a, v27
	v_sub_f32_e32 v24, v12, v48
	v_sub_f32_e32 v26, v10, v47
	;; [unrolled: 1-line block ×3, first 2 shown]
	ds_store_2addr_b64 v57, v[2:3], v[4:5] offset1:3
	ds_store_b64 v57, v[0:1] offset:96
	v_sub_f32_e32 v0, v10, v34
	v_dual_sub_f32 v1, v47, v42 :: v_dual_sub_f32 v2, v12, v35
	v_sub_f32_e32 v3, v48, v43
	v_mad_u16 v4, v112, 15, v114
	s_delay_alu instid0(VALU_DEP_3) | instskip(SKIP_1) | instid1(VALU_DEP_4)
	v_dual_fmac_f32 v30, v81, v223 :: v_dual_add_f32 v11, v0, v1
	v_dual_add_f32 v0, v34, v42 :: v_dual_add_f32 v1, v35, v43
	v_add_f32_e32 v14, v2, v3
	v_dual_add_f32 v2, v36, v10 :: v_dual_add_f32 v3, v37, v12
	s_delay_alu instid0(VALU_DEP_3) | instskip(NEXT) | instid1(VALU_DEP_4)
	v_fma_f32 v0, -0.5, v0, v36
	v_fma_f32 v1, -0.5, v1, v37
	s_delay_alu instid0(VALU_DEP_3) | instskip(NEXT) | instid1(VALU_DEP_3)
	v_dual_add_f32 v2, v2, v34 :: v_dual_and_b32 v15, 0xffff, v4
	v_dual_add_f32 v3, v3, v35 :: v_dual_fmamk_f32 v4, v24, 0x3f737871, v0
	s_delay_alu instid0(VALU_DEP_3) | instskip(NEXT) | instid1(VALU_DEP_3)
	v_fmamk_f32 v5, v26, 0xbf737871, v1
	v_dual_add_f32 v2, v2, v42 :: v_dual_lshlrev_b32 v15, 3, v15
	s_delay_alu instid0(VALU_DEP_3) | instskip(NEXT) | instid1(VALU_DEP_4)
	v_add_f32_e32 v3, v3, v43
	v_fmac_f32_e32 v4, 0x3f167918, v27
	s_delay_alu instid0(VALU_DEP_4) | instskip(NEXT) | instid1(VALU_DEP_4)
	v_fmac_f32_e32 v5, 0xbf167918, v28
	v_dual_mov_b32 v29, v15 :: v_dual_add_f32 v2, v2, v47
	s_delay_alu instid0(VALU_DEP_3) | instskip(NEXT) | instid1(VALU_DEP_3)
	v_dual_add_f32 v3, v3, v48 :: v_dual_fmac_f32 v4, 0x3e9e377a, v11
	v_fmac_f32_e32 v5, 0x3e9e377a, v14
	v_fmac_f32_e32 v0, 0xbf737871, v24
	;; [unrolled: 1-line block ×3, first 2 shown]
	scratch_store_b32 off, v57, off offset:296 ; 4-byte Folded Spill
	ds_store_2addr_b64 v15, v[2:3], v[4:5] offset1:3
	v_sub_f32_e32 v2, v34, v10
	v_sub_f32_e32 v3, v42, v47
	v_add_f32_e32 v4, v10, v47
	v_add_f32_e32 v10, v12, v48
	v_sub_f32_e32 v5, v35, v12
	s_delay_alu instid0(VALU_DEP_4) | instskip(NEXT) | instid1(VALU_DEP_4)
	v_dual_sub_f32 v12, v43, v48 :: v_dual_add_f32 v15, v2, v3
	v_fma_f32 v2, -0.5, v4, v36
	s_delay_alu instid0(VALU_DEP_4) | instskip(SKIP_1) | instid1(VALU_DEP_4)
	v_fma_f32 v3, -0.5, v10, v37
	v_fmac_f32_e32 v0, 0xbf167918, v27
	v_add_f32_e32 v10, v5, v12
	v_fmac_f32_e32 v1, 0x3f167918, v28
	v_fmamk_f32 v4, v27, 0xbf737871, v2
	v_dual_fmac_f32 v2, 0x3f737871, v27 :: v_dual_fmamk_f32 v5, v28, 0x3f737871, v3
	v_fmac_f32_e32 v3, 0xbf737871, v28
	v_fmac_f32_e32 v0, 0x3e9e377a, v11
	s_delay_alu instid0(VALU_DEP_4) | instskip(NEXT) | instid1(VALU_DEP_4)
	v_fmac_f32_e32 v4, 0x3f167918, v24
	v_dual_fmac_f32 v2, 0xbf167918, v24 :: v_dual_fmac_f32 v5, 0xbf167918, v26
	s_delay_alu instid0(VALU_DEP_4)
	v_fmac_f32_e32 v3, 0x3f167918, v26
	v_fmac_f32_e32 v1, 0x3e9e377a, v14
	v_mul_f32_e32 v28, v74, v230
	v_mul_f32_e32 v42, v110, v244
	v_fmac_f32_e32 v4, 0x3e9e377a, v15
	v_dual_fmac_f32 v2, 0x3e9e377a, v15 :: v_dual_fmac_f32 v5, 0x3e9e377a, v10
	v_fmac_f32_e32 v3, 0x3e9e377a, v10
	ds_store_b64 v29, v[0:1] offset:96
	v_add_f32_e32 v0, v40, v45
	v_add_f32_e32 v1, v13, v49
	v_fmac_f32_e32 v28, v75, v229
	v_fmac_f32_e32 v42, v111, v243
	v_mul_f32_e32 v50, v55, v95
	ds_store_2addr_b64 v29, v[4:5], v[2:3] offset0:6 offset1:9
	v_add_f32_e32 v5, v38, v13
	v_fma_f32 v0, -0.5, v0, v38
	v_fma_f32 v38, -0.5, v1, v38
	v_fmac_f32_e32 v50, v56, v94
	v_sub_f32_e32 v1, v40, v13
	v_sub_f32_e32 v2, v45, v49
	v_add_f32_e32 v10, v39, v25
	v_sub_f32_e32 v12, v41, v46
	v_sub_f32_e32 v11, v46, v50
	;; [unrolled: 1-line block ×3, first 2 shown]
	v_add_f32_e32 v3, v1, v2
	v_add_f32_e32 v1, v41, v46
	v_dual_add_f32 v2, v25, v50 :: v_dual_sub_f32 v15, v40, v45
	v_mad_u16 v4, v113, 15, v115
	v_sub_f32_e32 v24, v13, v49
	s_delay_alu instid0(VALU_DEP_4) | instskip(NEXT) | instid1(VALU_DEP_4)
	v_fma_f32 v1, -0.5, v1, v39
	v_dual_fmac_f32 v39, -0.5, v2 :: v_dual_sub_f32 v2, v41, v25
	s_delay_alu instid0(VALU_DEP_4)
	v_and_b32_e32 v4, 0xffff, v4
	v_mul_f32_e32 v34, v88, v238
	v_mul_f32_e32 v26, v72, v222
	;; [unrolled: 1-line block ×3, first 2 shown]
	v_dual_add_f32 v11, v2, v11 :: v_dual_fmamk_f32 v2, v12, 0xbf737871, v38
	v_fmac_f32_e32 v38, 0x3f737871, v12
	v_lshlrev_b32_e32 v4, 3, v4
	v_fmac_f32_e32 v34, v89, v237
	v_fmac_f32_e32 v26, v73, v221
	;; [unrolled: 1-line block ×3, first 2 shown]
	s_delay_alu instid0(VALU_DEP_4)
	v_dual_fmac_f32 v38, 0xbf167918, v14 :: v_dual_mov_b32 v43, v4
	scratch_store_b32 off, v29, off offset:300 ; 4-byte Folded Spill
	v_fmac_f32_e32 v36, v91, v241
	v_fmac_f32_e32 v2, 0x3e9e377a, v3
	;; [unrolled: 1-line block ×3, first 2 shown]
	v_fmamk_f32 v3, v15, 0x3f737871, v39
	v_fmac_f32_e32 v39, 0xbf737871, v15
	scratch_store_b32 off, v43, off offset:308 ; 4-byte Folded Spill
	v_fmac_f32_e32 v3, 0xbf167918, v24
	v_fmac_f32_e32 v39, 0x3f167918, v24
	s_delay_alu instid0(VALU_DEP_2) | instskip(NEXT) | instid1(VALU_DEP_2)
	v_fmac_f32_e32 v3, 0x3e9e377a, v11
	v_dual_fmac_f32 v39, 0x3e9e377a, v11 :: v_dual_mov_b32 v200, v76
	ds_store_2addr_b64 v4, v[2:3], v[38:39] offset0:6 offset1:9
	v_mul_f32_e32 v2, v73, v222
	v_dual_sub_f32 v4, v13, v40 :: v_dual_add_f32 v3, v10, v41
	v_dual_sub_f32 v10, v49, v45 :: v_dual_sub_f32 v13, v50, v46
	s_delay_alu instid0(VALU_DEP_3) | instskip(SKIP_2) | instid1(VALU_DEP_4)
	v_fma_f32 v11, v72, v221, -v2
	v_mul_f32_e32 v2, v75, v230
	v_mul_f32_e32 v38, v108, v240
	v_add_f32_e32 v10, v4, v10
	v_fmamk_f32 v4, v14, 0x3f737871, v0
	v_fmac_f32_e32 v0, 0xbf737871, v14
	v_fma_f32 v27, v74, v229, -v2
	v_dual_mul_f32 v2, v81, v224 :: v_dual_add_f32 v3, v3, v46
	s_delay_alu instid0(VALU_DEP_4) | instskip(NEXT) | instid1(VALU_DEP_4)
	v_fmac_f32_e32 v4, 0x3f167918, v12
	v_fmac_f32_e32 v0, 0xbf167918, v12
	v_fmac_f32_e32 v38, v109, v239
	s_delay_alu instid0(VALU_DEP_4)
	v_fma_f32 v29, v80, v223, -v2
	v_mul_f32_e32 v2, v83, v232
	v_add_f32_e32 v3, v3, v50
	v_fmac_f32_e32 v0, 0x3e9e377a, v10
	v_fmac_f32_e32 v4, 0x3e9e377a, v10
	v_sub_f32_e32 v9, v26, v38
	v_fma_f32 v31, v82, v231, -v2
	v_mul_f32_e32 v2, v89, v238
	s_delay_alu instid0(VALU_DEP_1) | instskip(SKIP_1) | instid1(VALU_DEP_1)
	v_fma_f32 v33, v88, v237, -v2
	v_mul_f32_e32 v2, v91, v242
	v_fma_f32 v35, v90, v241, -v2
	s_delay_alu instid0(VALU_DEP_1) | instskip(NEXT) | instid1(VALU_DEP_1)
	v_dual_mul_f32 v2, v109, v240 :: v_dual_sub_f32 v7, v31, v35
	v_fma_f32 v37, v108, v239, -v2
	v_mul_f32_e32 v2, v111, v244
	s_delay_alu instid0(VALU_DEP_2) | instskip(NEXT) | instid1(VALU_DEP_2)
	v_sub_f32_e32 v14, v11, v37
	v_fma_f32 v39, v110, v243, -v2
	v_add_f32_e32 v2, v5, v40
	v_sub_f32_e32 v5, v25, v41
	s_delay_alu instid0(VALU_DEP_2) | instskip(NEXT) | instid1(VALU_DEP_2)
	v_add_f32_e32 v2, v2, v45
	v_add_f32_e32 v13, v5, v13
	v_fmamk_f32 v5, v24, 0xbf737871, v1
	v_dual_fmac_f32 v1, 0x3f737871, v24 :: v_dual_mov_b32 v24, v8
	s_delay_alu instid0(VALU_DEP_2) | instskip(NEXT) | instid1(VALU_DEP_2)
	v_dual_add_f32 v2, v2, v49 :: v_dual_fmac_f32 v5, 0xbf167918, v15
	v_fmac_f32_e32 v1, 0x3f167918, v15
	v_sub_f32_e32 v15, v29, v33
	s_delay_alu instid0(VALU_DEP_3) | instskip(NEXT) | instid1(VALU_DEP_3)
	v_fmac_f32_e32 v5, 0x3e9e377a, v13
	v_fmac_f32_e32 v1, 0x3e9e377a, v13
	v_sub_f32_e32 v13, v30, v34
	ds_store_2addr_b64 v43, v[2:3], v[4:5] offset1:3
	ds_store_b64 v43, v[0:1] offset:96
	v_sub_f32_e32 v0, v11, v29
	v_dual_sub_f32 v1, v37, v33 :: v_dual_add_f32 v2, v16, v11
	v_add_f32_e32 v3, v17, v26
	v_sub_f32_e32 v4, v26, v30
	s_delay_alu instid0(VALU_DEP_3) | instskip(SKIP_1) | instid1(VALU_DEP_4)
	v_dual_sub_f32 v5, v38, v34 :: v_dual_add_f32 v10, v0, v1
	v_dual_add_f32 v0, v29, v33 :: v_dual_add_f32 v1, v30, v34
	v_dual_add_f32 v2, v2, v29 :: v_dual_add_f32 v3, v3, v30
	s_delay_alu instid0(VALU_DEP_3) | instskip(NEXT) | instid1(VALU_DEP_3)
	v_add_f32_e32 v12, v4, v5
	v_fma_f32 v0, -0.5, v0, v16
	s_delay_alu instid0(VALU_DEP_4) | instskip(NEXT) | instid1(VALU_DEP_4)
	v_fma_f32 v1, -0.5, v1, v17
	v_dual_add_f32 v2, v2, v33 :: v_dual_add_f32 v3, v3, v34
	s_delay_alu instid0(VALU_DEP_3) | instskip(NEXT) | instid1(VALU_DEP_3)
	v_fmamk_f32 v4, v9, 0x3f737871, v0
	v_fmamk_f32 v5, v14, 0xbf737871, v1
	s_delay_alu instid0(VALU_DEP_3) | instskip(SKIP_1) | instid1(VALU_DEP_4)
	v_dual_add_f32 v2, v2, v37 :: v_dual_add_f32 v3, v3, v38
	v_fmac_f32_e32 v0, 0xbf737871, v9
	v_fmac_f32_e32 v4, 0x3f167918, v13
	s_delay_alu instid0(VALU_DEP_4) | instskip(SKIP_1) | instid1(VALU_DEP_4)
	v_fmac_f32_e32 v5, 0xbf167918, v15
	v_fmac_f32_e32 v1, 0x3f737871, v14
	;; [unrolled: 1-line block ×3, first 2 shown]
	s_delay_alu instid0(VALU_DEP_3) | instskip(NEXT) | instid1(VALU_DEP_3)
	v_dual_fmac_f32 v4, 0x3e9e377a, v10 :: v_dual_fmac_f32 v5, 0x3e9e377a, v12
	v_fmac_f32_e32 v1, 0x3f167918, v15
	s_delay_alu instid0(VALU_DEP_3)
	v_fmac_f32_e32 v0, 0x3e9e377a, v10
	v_sub_f32_e32 v10, v36, v42
	ds_store_2addr_b64 v8, v[2:3], v[4:5] offset1:3
	v_sub_f32_e32 v2, v29, v11
	v_sub_f32_e32 v3, v33, v37
	v_add_f32_e32 v4, v11, v37
	v_sub_f32_e32 v8, v30, v26
	v_sub_f32_e32 v11, v34, v38
	v_fmac_f32_e32 v1, 0x3e9e377a, v12
	v_add_f32_e32 v5, v2, v3
	v_fma_f32 v2, -0.5, v4, v16
	s_delay_alu instid0(VALU_DEP_4)
	v_dual_add_f32 v3, v26, v38 :: v_dual_add_f32 v8, v8, v11
	ds_store_b64 v24, v[0:1] offset:96
	v_add_f32_e32 v0, v31, v35
	v_fmamk_f32 v4, v13, 0xbf737871, v2
	v_fmac_f32_e32 v2, 0x3f737871, v13
	v_fma_f32 v3, -0.5, v3, v17
	v_add_f32_e32 v1, v27, v39
	v_fma_f32 v0, -0.5, v0, v18
	v_fmac_f32_e32 v4, 0x3f167918, v9
	v_dual_fmac_f32 v2, 0xbf167918, v9 :: v_dual_sub_f32 v9, v28, v42
	v_sub_f32_e32 v11, v27, v39
	s_delay_alu instid0(VALU_DEP_3) | instskip(NEXT) | instid1(VALU_DEP_3)
	v_dual_mov_b32 v13, v6 :: v_dual_fmac_f32 v4, 0x3e9e377a, v5
	v_fmac_f32_e32 v2, 0x3e9e377a, v5
	v_fmamk_f32 v5, v15, 0x3f737871, v3
	v_fmac_f32_e32 v3, 0xbf737871, v15
	s_clause 0x1
	scratch_store_b32 off, v24, off offset:312
	scratch_store_b32 off, v13, off offset:304
	v_fmac_f32_e32 v5, 0xbf167918, v14
	v_fmac_f32_e32 v3, 0x3f167918, v14
	s_delay_alu instid0(VALU_DEP_2) | instskip(NEXT) | instid1(VALU_DEP_2)
	v_fmac_f32_e32 v5, 0x3e9e377a, v8
	v_fmac_f32_e32 v3, 0x3e9e377a, v8
	v_sub_f32_e32 v8, v32, v36
	ds_store_2addr_b64 v24, v[4:5], v[2:3] offset0:6 offset1:9
	v_add_f32_e32 v4, v18, v27
	v_fma_f32 v18, -0.5, v1, v18
	v_sub_f32_e32 v2, v31, v27
	v_sub_f32_e32 v3, v35, v39
	v_add_f32_e32 v1, v32, v36
	v_add_f32_e32 v5, v19, v28
	s_delay_alu instid0(VALU_DEP_3) | instskip(SKIP_1) | instid1(VALU_DEP_4)
	v_dual_add_f32 v3, v2, v3 :: v_dual_fmamk_f32 v2, v8, 0xbf737871, v18
	v_fmac_f32_e32 v18, 0x3f737871, v8
	v_fma_f32 v1, -0.5, v1, v19
	s_delay_alu instid0(VALU_DEP_3) | instskip(NEXT) | instid1(VALU_DEP_3)
	v_fmac_f32_e32 v2, 0x3f167918, v9
	v_fmac_f32_e32 v18, 0xbf167918, v9
	s_delay_alu instid0(VALU_DEP_2) | instskip(NEXT) | instid1(VALU_DEP_2)
	v_fmac_f32_e32 v2, 0x3e9e377a, v3
	v_dual_fmac_f32 v18, 0x3e9e377a, v3 :: v_dual_add_f32 v3, v28, v42
	s_delay_alu instid0(VALU_DEP_1) | instskip(SKIP_1) | instid1(VALU_DEP_1)
	v_fmac_f32_e32 v19, -0.5, v3
	v_sub_f32_e32 v3, v32, v28
	v_add_f32_e32 v10, v3, v10
	s_delay_alu instid0(VALU_DEP_3) | instskip(SKIP_1) | instid1(VALU_DEP_2)
	v_fmamk_f32 v3, v7, 0x3f737871, v19
	v_fmac_f32_e32 v19, 0xbf737871, v7
	v_fmac_f32_e32 v3, 0xbf167918, v11
	s_delay_alu instid0(VALU_DEP_2) | instskip(NEXT) | instid1(VALU_DEP_2)
	v_fmac_f32_e32 v19, 0x3f167918, v11
	v_fmac_f32_e32 v3, 0x3e9e377a, v10
	s_delay_alu instid0(VALU_DEP_2) | instskip(SKIP_4) | instid1(VALU_DEP_2)
	v_dual_fmac_f32 v19, 0x3e9e377a, v10 :: v_dual_sub_f32 v10, v42, v36
	ds_store_2addr_b64 v6, v[2:3], v[18:19] offset0:6 offset1:9
	v_add_f32_e32 v2, v4, v31
	v_dual_sub_f32 v4, v27, v31 :: v_dual_add_f32 v3, v5, v32
	v_dual_sub_f32 v5, v39, v35 :: v_dual_sub_f32 v6, v28, v32
	v_dual_add_f32 v2, v2, v35 :: v_dual_add_f32 v3, v3, v36
	s_delay_alu instid0(VALU_DEP_2) | instskip(SKIP_3) | instid1(VALU_DEP_3)
	v_add_f32_e32 v12, v4, v5
	v_fmamk_f32 v4, v9, 0x3f737871, v0
	v_dual_fmamk_f32 v5, v11, 0xbf737871, v1 :: v_dual_fmac_f32 v0, 0xbf737871, v9
	v_dual_fmac_f32 v1, 0x3f737871, v11 :: v_dual_add_f32 v6, v6, v10
	v_fmac_f32_e32 v4, 0x3f167918, v8
	s_delay_alu instid0(VALU_DEP_3) | instskip(NEXT) | instid1(VALU_DEP_3)
	v_dual_fmac_f32 v5, 0xbf167918, v7 :: v_dual_fmac_f32 v0, 0xbf167918, v8
	v_fmac_f32_e32 v1, 0x3f167918, v7
	v_dual_add_f32 v2, v2, v39 :: v_dual_add_f32 v3, v3, v42
	s_delay_alu instid0(VALU_DEP_4) | instskip(NEXT) | instid1(VALU_DEP_3)
	v_fmac_f32_e32 v4, 0x3e9e377a, v12
	v_dual_fmac_f32 v0, 0x3e9e377a, v12 :: v_dual_fmac_f32 v1, 0x3e9e377a, v6
	v_fmac_f32_e32 v5, 0x3e9e377a, v6
	ds_store_b64 v13, v[0:1] offset:96
	v_mul_lo_u16 v0, 0x89, v20
	ds_store_2addr_b64 v13, v[2:3], v[4:5] offset1:3
	global_wb scope:SCOPE_SE
	s_wait_storecnt_dscnt 0x0
	s_barrier_signal -1
	s_barrier_wait -1
	v_lshrrev_b16 v2, 11, v0
	v_mul_lo_u16 v0, 0x89, v44
	global_inv scope:SCOPE_SE
	v_lshrrev_b16 v45, 11, v0
	v_mul_lo_u16 v0, v2, 15
	v_and_b32_e32 v2, 0xffff, v2
	s_delay_alu instid0(VALU_DEP_3) | instskip(NEXT) | instid1(VALU_DEP_3)
	v_mul_lo_u16 v1, v45, 15
	v_sub_nc_u16 v0, v160, v0
	s_delay_alu instid0(VALU_DEP_3) | instskip(NEXT) | instid1(VALU_DEP_3)
	v_mul_u32_u24_e32 v2, 0x4b, v2
	v_sub_nc_u16 v3, v161, v1
	s_delay_alu instid0(VALU_DEP_3) | instskip(NEXT) | instid1(VALU_DEP_2)
	v_and_b32_e32 v1, 0xff, v0
	v_and_b32_e32 v0, 0xff, v3
	s_delay_alu instid0(VALU_DEP_2)
	v_lshlrev_b32_e32 v3, 5, v1
	s_clause 0x1
	global_load_b128 v[12:15], v3, s[10:11] offset:96
	global_load_b128 v[116:119], v3, s[10:11] offset:112
	ds_load_2addr_b64 v[3:6], v86 offset0:110 offset1:235
	v_add_lshl_u32 v64, v2, v1, 3
	s_wait_loadcnt_dscnt 0x100
	v_mul_f32_e32 v7, v4, v13
	v_mul_f32_e32 v61, v3, v13
	scratch_store_b128 off, v[12:15], off offset:548 ; 16-byte Folded Spill
	v_fma_f32 v11, v3, v12, -v7
	v_lshlrev_b32_e32 v3, 5, v0
	s_clause 0x1
	global_load_b128 v[124:127], v3, s[10:11] offset:96
	global_load_b128 v[120:123], v3, s[10:11] offset:112
	v_fmac_f32_e32 v61, v4, v12
	s_wait_loadcnt 0x1
	v_mul_f32_e32 v3, v6, v125
	v_mul_f32_e32 v63, v5, v125
	s_delay_alu instid0(VALU_DEP_2) | instskip(NEXT) | instid1(VALU_DEP_2)
	v_fma_f32 v62, v5, v124, -v3
	v_fmac_f32_e32 v63, v6, v124
	ds_load_2addr_b64 v[3:6], v79 offset0:92 offset1:217
	s_wait_dscnt 0x0
	v_mul_f32_e32 v7, v4, v15
	v_mul_f32_e32 v73, v3, v15
	;; [unrolled: 1-line block ×3, first 2 shown]
	s_delay_alu instid0(VALU_DEP_3) | instskip(SKIP_1) | instid1(VALU_DEP_4)
	v_fma_f32 v72, v3, v14, -v7
	v_mul_f32_e32 v3, v6, v127
	v_fmac_f32_e32 v73, v4, v14
	s_delay_alu instid0(VALU_DEP_4) | instskip(NEXT) | instid1(VALU_DEP_3)
	v_fmac_f32_e32 v75, v6, v126
	v_fma_f32 v74, v5, v126, -v3
	ds_load_2addr_b64 v[3:6], v197 offset0:74 offset1:199
	s_wait_dscnt 0x0
	v_mul_f32_e32 v7, v4, v117
	v_mul_f32_e32 v81, v3, v117
	s_wait_loadcnt 0x0
	v_mul_f32_e32 v83, v5, v121
	s_delay_alu instid0(VALU_DEP_3) | instskip(SKIP_2) | instid1(VALU_DEP_4)
	v_fma_f32 v80, v3, v116, -v7
	v_mul_f32_e32 v3, v6, v121
	v_fmac_f32_e32 v81, v4, v116
	v_fmac_f32_e32 v83, v6, v120
	s_delay_alu instid0(VALU_DEP_4) | instskip(NEXT) | instid1(VALU_DEP_4)
	v_add_f32_e32 v1, v72, v80
	v_fma_f32 v82, v5, v120, -v3
	ds_load_2addr_b64 v[3:6], v84 offset0:56 offset1:181
	v_add_f32_e32 v2, v73, v81
	v_dual_sub_f32 v114, v73, v81 :: v_dual_sub_f32 v115, v72, v80
	s_wait_dscnt 0x0
	v_mul_f32_e32 v7, v4, v119
	v_mul_f32_e32 v89, v3, v119
	;; [unrolled: 1-line block ×3, first 2 shown]
	s_delay_alu instid0(VALU_DEP_3) | instskip(SKIP_1) | instid1(VALU_DEP_3)
	v_fma_f32 v88, v3, v118, -v7
	v_mul_f32_e32 v3, v6, v123
	v_fmac_f32_e32 v91, v6, v122
	v_fmac_f32_e32 v89, v4, v118
	v_mul_u32_u24_e32 v4, 0x8889, v23
	v_sub_f32_e32 v113, v11, v88
	v_fma_f32 v90, v5, v122, -v3
	ds_load_2addr_b64 v[5:8], v196 offset1:125
	v_mul_u32_u24_e32 v3, 0x8889, v60
	v_sub_f32_e32 v112, v61, v89
	s_delay_alu instid0(VALU_DEP_2)
	v_lshrrev_b32_e32 v110, 19, v3
	s_wait_dscnt 0x0
	v_fma_f32 v9, -0.5, v1, v5
	v_fma_f32 v10, -0.5, v2, v6
	v_sub_f32_e32 v1, v11, v72
	v_sub_f32_e32 v2, v88, v80
	s_delay_alu instid0(VALU_DEP_4) | instskip(NEXT) | instid1(VALU_DEP_4)
	v_fmamk_f32 v58, v112, 0x3f737871, v9
	v_fmamk_f32 v59, v113, 0xbf737871, v10
	s_delay_alu instid0(VALU_DEP_3)
	v_dual_fmac_f32 v9, 0xbf737871, v112 :: v_dual_add_f32 v108, v1, v2
	v_sub_f32_e32 v1, v61, v73
	v_sub_f32_e32 v2, v89, v81
	v_fmac_f32_e32 v58, 0x3f167918, v114
	v_fmac_f32_e32 v59, 0xbf167918, v115
	;; [unrolled: 1-line block ×4, first 2 shown]
	v_add_f32_e32 v109, v1, v2
	v_dual_add_f32 v1, v5, v11 :: v_dual_add_f32 v2, v6, v61
	v_fmac_f32_e32 v58, 0x3e9e377a, v108
	v_fmac_f32_e32 v10, 0x3f167918, v115
	s_delay_alu instid0(VALU_DEP_4) | instskip(NEXT) | instid1(VALU_DEP_4)
	v_fmac_f32_e32 v59, 0x3e9e377a, v109
	v_dual_add_f32 v1, v1, v72 :: v_dual_add_f32 v2, v2, v73
	s_delay_alu instid0(VALU_DEP_3) | instskip(NEXT) | instid1(VALU_DEP_2)
	v_dual_fmac_f32 v9, 0x3e9e377a, v108 :: v_dual_fmac_f32 v10, 0x3e9e377a, v109
	v_dual_add_f32 v1, v1, v80 :: v_dual_add_f32 v2, v2, v81
	s_delay_alu instid0(VALU_DEP_1) | instskip(SKIP_2) | instid1(VALU_DEP_2)
	v_dual_add_f32 v18, v1, v88 :: v_dual_add_f32 v19, v2, v89
	v_mul_u32_u24_e32 v1, 0x8889, v21
	v_mul_u32_u24_e32 v2, 0x8889, v22
	v_lshrrev_b32_e32 v12, 19, v1
	s_delay_alu instid0(VALU_DEP_2) | instskip(SKIP_2) | instid1(VALU_DEP_2)
	v_lshrrev_b32_e32 v3, 19, v2
	v_mul_lo_u16 v2, v110, 15
	v_lshrrev_b32_e32 v1, 19, v4
	v_sub_nc_u16 v111, v168, v2
	v_mul_lo_u16 v2, v12, 15
	s_delay_alu instid0(VALU_DEP_2) | instskip(NEXT) | instid1(VALU_DEP_2)
	v_lshlrev_b16 v14, 5, v111
	v_sub_nc_u16 v13, v172, v2
	v_mul_lo_u16 v2, v3, 15
	s_delay_alu instid0(VALU_DEP_3) | instskip(NEXT) | instid1(VALU_DEP_3)
	v_and_b32_e32 v14, 0xffff, v14
	v_lshlrev_b16 v15, 5, v13
	s_delay_alu instid0(VALU_DEP_3) | instskip(SKIP_4) | instid1(VALU_DEP_4)
	v_sub_nc_u16 v4, v167, v2
	v_mul_lo_u16 v2, v1, 15
	v_mad_u16 v12, 0x4b, v12, v13
	v_add_co_u32 v14, s12, s10, v14
	v_and_b32_e32 v16, 0xffff, v15
	v_sub_nc_u16 v2, v213, v2
	v_lshlrev_b16 v15, 5, v4
	v_and_b32_e32 v12, 0xffff, v12
	s_delay_alu instid0(VALU_DEP_2) | instskip(NEXT) | instid1(VALU_DEP_4)
	v_and_b32_e32 v20, 0xffff, v15
	v_lshlrev_b16 v15, 5, v2
	v_mad_u16 v2, 0x4b, v1, v2
	s_delay_alu instid0(VALU_DEP_2)
	v_and_b32_e32 v22, 0xffff, v15
	s_wait_alu 0xf1ff
	v_add_co_ci_u32_e64 v15, null, s11, 0, s12
	v_add_co_u32 v16, s12, s10, v16
	s_wait_alu 0xf1ff
	v_add_co_ci_u32_e64 v17, null, s11, 0, s12
	v_add_co_u32 v20, s12, s10, v20
	;; [unrolled: 3-line block ×3, first 2 shown]
	s_wait_alu 0xf1ff
	v_add_co_ci_u32_e64 v23, null, s11, 0, s12
	s_clause 0x7
	global_load_b128 v[156:159], v[14:15], off offset:96
	global_load_b128 v[148:151], v[14:15], off offset:112
	;; [unrolled: 1-line block ×8, first 2 shown]
	ds_load_2addr_b64 v[40:43], v204 offset0:122 offset1:247
	ds_load_2addr_b64 v[14:17], v85 offset0:104 offset1:229
	;; [unrolled: 1-line block ×10, first 2 shown]
	global_wb scope:SCOPE_SE
	s_wait_storecnt 0x0
	s_wait_loadcnt_dscnt 0x0
	s_barrier_signal -1
	s_barrier_wait -1
	global_inv scope:SCOPE_SE
	ds_store_2addr_b64 v64, v[18:19], v[58:59] offset1:15
	v_dual_sub_f32 v18, v72, v11 :: v_dual_add_f32 v11, v11, v88
	v_sub_f32_e32 v19, v80, v88
	v_add_f32_e32 v59, v61, v89
	v_sub_f32_e32 v58, v73, v61
	v_sub_f32_e32 v61, v81, v89
	v_fma_f32 v5, -0.5, v11, v5
	v_add_f32_e32 v19, v18, v19
	v_fma_f32 v6, -0.5, v59, v6
	v_sub_f32_e32 v59, v75, v83
	v_add_f32_e32 v11, v58, v61
	v_fmamk_f32 v18, v114, 0xbf737871, v5
	v_fmac_f32_e32 v5, 0x3f737871, v114
	v_add_f32_e32 v58, v7, v62
	v_sub_f32_e32 v61, v63, v91
	ds_store_b64 v64, v[9:10] offset:480
	v_fmac_f32_e32 v18, 0x3f167918, v112
	v_dual_fmac_f32 v5, 0xbf167918, v112 :: v_dual_add_f32 v72, v8, v63
	v_sub_f32_e32 v9, v83, v91
	s_delay_alu instid0(VALU_DEP_3) | instskip(NEXT) | instid1(VALU_DEP_3)
	v_dual_sub_f32 v73, v74, v82 :: v_dual_fmac_f32 v18, 0x3e9e377a, v19
	v_fmac_f32_e32 v5, 0x3e9e377a, v19
	v_fmamk_f32 v19, v115, 0x3f737871, v6
	v_fmac_f32_e32 v6, 0xbf737871, v115
	v_sub_f32_e32 v80, v62, v90
	v_dual_mov_b32 v89, v79 :: v_dual_and_b32 v2, 0xffff, v2
	s_delay_alu instid0(VALU_DEP_4) | instskip(NEXT) | instid1(VALU_DEP_4)
	v_fmac_f32_e32 v19, 0xbf167918, v113
	v_fmac_f32_e32 v6, 0x3f167918, v113
	s_delay_alu instid0(VALU_DEP_3)
	v_lshlrev_b32_e32 v208, 3, v2
	scratch_store_b32 off, v64, off offset:400 ; 4-byte Folded Spill
	v_fmac_f32_e32 v19, 0x3e9e377a, v11
	v_fmac_f32_e32 v6, 0x3e9e377a, v11
	scratch_store_b32 off, v208, off offset:580 ; 4-byte Folded Spill
	ds_store_2addr_b64 v64, v[18:19], v[5:6] offset0:30 offset1:45
	v_add_f32_e32 v5, v74, v82
	v_add_f32_e32 v6, v62, v90
	s_delay_alu instid0(VALU_DEP_2) | instskip(NEXT) | instid1(VALU_DEP_2)
	v_fma_f32 v18, -0.5, v5, v7
	v_fma_f32 v7, -0.5, v6, v7
	v_sub_f32_e32 v5, v74, v62
	v_sub_f32_e32 v6, v82, v90
	s_delay_alu instid0(VALU_DEP_1) | instskip(SKIP_1) | instid1(VALU_DEP_2)
	v_dual_add_f32 v6, v5, v6 :: v_dual_fmamk_f32 v5, v59, 0xbf737871, v7
	v_fmac_f32_e32 v7, 0x3f737871, v59
	v_fmac_f32_e32 v5, 0x3f167918, v61
	s_delay_alu instid0(VALU_DEP_2) | instskip(NEXT) | instid1(VALU_DEP_2)
	v_fmac_f32_e32 v7, 0xbf167918, v61
	v_fmac_f32_e32 v5, 0x3e9e377a, v6
	s_delay_alu instid0(VALU_DEP_2) | instskip(NEXT) | instid1(VALU_DEP_1)
	v_dual_fmac_f32 v7, 0x3e9e377a, v6 :: v_dual_add_f32 v6, v75, v83
	v_fma_f32 v19, -0.5, v6, v8
	v_add_f32_e32 v6, v63, v91
	s_delay_alu instid0(VALU_DEP_1) | instskip(SKIP_1) | instid1(VALU_DEP_1)
	v_fmac_f32_e32 v8, -0.5, v6
	v_sub_f32_e32 v6, v75, v63
	v_dual_add_f32 v9, v6, v9 :: v_dual_fmamk_f32 v6, v73, 0x3f737871, v8
	v_fmac_f32_e32 v8, 0xbf737871, v73
	s_delay_alu instid0(VALU_DEP_2) | instskip(NEXT) | instid1(VALU_DEP_2)
	v_fmac_f32_e32 v6, 0xbf167918, v80
	v_fmac_f32_e32 v8, 0x3f167918, v80
	s_delay_alu instid0(VALU_DEP_2) | instskip(NEXT) | instid1(VALU_DEP_2)
	v_fmac_f32_e32 v6, 0x3e9e377a, v9
	v_fmac_f32_e32 v8, 0x3e9e377a, v9
	v_and_b32_e32 v9, 0xffff, v45
	s_delay_alu instid0(VALU_DEP_1) | instskip(NEXT) | instid1(VALU_DEP_1)
	v_mul_u32_u24_e32 v9, 0x4b, v9
	v_add_lshl_u32 v64, v9, v0, 3
	ds_store_2addr_b64 v64, v[5:6], v[7:8] offset0:30 offset1:45
	v_mul_f32_e32 v0, v15, v157
	v_mul_f32_e32 v6, v47, v159
	;; [unrolled: 1-line block ×3, first 2 shown]
	v_dual_mul_f32 v81, v14, v157 :: v_dual_mul_f32 v10, v55, v151
	s_delay_alu instid0(VALU_DEP_4) | instskip(SKIP_4) | instid1(VALU_DEP_4)
	v_fma_f32 v45, v14, v156, -v0
	v_mul_f32_e32 v0, v17, v153
	v_fma_f32 v88, v46, v158, -v6
	v_mul_f32_e32 v46, v46, v159
	v_dual_mul_f32 v6, v49, v155 :: v_dual_fmac_f32 v81, v15, v156
	v_fma_f32 v5, v16, v152, -v0
	v_mul_f32_e32 v0, v16, v153
	s_delay_alu instid0(VALU_DEP_4)
	v_fmac_f32_e32 v46, v47, v158
	v_fma_f32 v47, v50, v148, -v8
	v_mul_f32_e32 v8, v53, v145
	v_fma_f32 v7, v48, v154, -v6
	v_fmac_f32_e32 v0, v17, v152
	v_mul_f32_e32 v6, v48, v155
	v_mul_f32_e32 v48, v50, v149
	v_fma_f32 v9, v52, v144, -v8
	v_mul_f32_e32 v8, v52, v145
	v_sub_f32_e32 v16, v62, v74
	s_delay_alu instid0(VALU_DEP_4) | instskip(SKIP_1) | instid1(VALU_DEP_4)
	v_dual_sub_f32 v17, v90, v82 :: v_dual_fmac_f32 v48, v51, v148
	v_add_f32_e32 v14, v58, v74
	v_dual_fmac_f32 v8, v53, v144 :: v_dual_add_f32 v15, v72, v75
	v_sub_f32_e32 v51, v63, v75
	s_delay_alu instid0(VALU_DEP_4) | instskip(SKIP_3) | instid1(VALU_DEP_3)
	v_dual_sub_f32 v52, v91, v83 :: v_dual_add_f32 v53, v16, v17
	v_fmamk_f32 v16, v61, 0x3f737871, v18
	v_dual_fmamk_f32 v17, v80, 0xbf737871, v19 :: v_dual_add_f32 v14, v14, v82
	v_add_f32_e32 v15, v15, v83
	v_dual_add_f32 v51, v51, v52 :: v_dual_fmac_f32 v16, 0x3f167918, v59
	s_delay_alu instid0(VALU_DEP_3)
	v_fmac_f32_e32 v17, 0xbf167918, v73
	v_fmac_f32_e32 v18, 0xbf737871, v61
	v_dual_fmac_f32 v19, 0x3f737871, v80 :: v_dual_fmac_f32 v6, v49, v154
	v_fma_f32 v49, v54, v150, -v10
	v_mul_f32_e32 v50, v54, v151
	v_dual_add_f32 v14, v14, v90 :: v_dual_add_f32 v15, v15, v91
	v_dual_fmac_f32 v16, 0x3e9e377a, v53 :: v_dual_fmac_f32 v17, 0x3e9e377a, v51
	v_fmac_f32_e32 v18, 0xbf167918, v59
	s_delay_alu instid0(VALU_DEP_4)
	v_dual_fmac_f32 v19, 0x3f167918, v73 :: v_dual_fmac_f32 v50, v55, v150
	v_mul_f32_e32 v10, v57, v147
	ds_store_2addr_b64 v64, v[14:15], v[16:17] offset1:15
	v_dual_fmac_f32 v18, 0x3e9e377a, v53 :: v_dual_fmac_f32 v19, 0x3e9e377a, v51
	v_sub_f32_e32 v14, v45, v88
	v_sub_f32_e32 v15, v49, v47
	v_dual_add_f32 v16, v88, v47 :: v_dual_add_f32 v17, v46, v48
	v_fma_f32 v11, v56, v146, -v10
	v_mul_f32_e32 v10, v56, v147
	ds_store_b64 v64, v[18:19] offset:480
	v_dual_add_f32 v51, v14, v15 :: v_dual_add_f32 v14, v40, v45
	v_add_f32_e32 v15, v41, v81
	v_fma_f32 v16, -0.5, v16, v40
	v_fma_f32 v17, -0.5, v17, v41
	v_dual_sub_f32 v18, v81, v46 :: v_dual_sub_f32 v19, v50, v48
	v_sub_f32_e32 v54, v81, v50
	v_sub_f32_e32 v56, v45, v49
	v_fmac_f32_e32 v10, v57, v146
	v_dual_add_f32 v14, v14, v88 :: v_dual_add_f32 v15, v15, v46
	v_add_f32_e32 v52, v18, v19
	v_mad_u16 v53, 0x4b, v110, v111
	v_sub_f32_e32 v55, v46, v48
	v_fmamk_f32 v18, v54, 0x3f737871, v16
	v_fmamk_f32 v19, v56, 0xbf737871, v17
	v_sub_f32_e32 v57, v88, v47
	v_dual_add_f32 v14, v14, v47 :: v_dual_add_f32 v15, v15, v48
	s_delay_alu instid0(VALU_DEP_4) | instskip(SKIP_1) | instid1(VALU_DEP_4)
	v_fmac_f32_e32 v18, 0x3f167918, v55
	v_and_b32_e32 v53, 0xffff, v53
	v_fmac_f32_e32 v19, 0xbf167918, v57
	s_delay_alu instid0(VALU_DEP_4) | instskip(NEXT) | instid1(VALU_DEP_3)
	v_dual_add_f32 v14, v14, v49 :: v_dual_add_f32 v15, v15, v50
	v_dual_fmac_f32 v18, 0x3e9e377a, v51 :: v_dual_lshlrev_b32 v53, 3, v53
	s_delay_alu instid0(VALU_DEP_3)
	v_fmac_f32_e32 v19, 0x3e9e377a, v52
	v_fmac_f32_e32 v16, 0xbf737871, v54
	v_fmac_f32_e32 v17, 0x3f737871, v56
	v_sub_f32_e32 v13, v7, v9
	v_mov_b32_e32 v91, v77
	ds_store_2addr_b64 v53, v[14:15], v[18:19] offset1:15
	v_sub_f32_e32 v14, v88, v45
	v_sub_f32_e32 v15, v47, v49
	v_add_f32_e32 v18, v45, v49
	v_fmac_f32_e32 v16, 0xbf167918, v55
	v_fmac_f32_e32 v17, 0x3f167918, v57
	v_sub_f32_e32 v45, v8, v10
	v_add_f32_e32 v19, v14, v15
	v_fma_f32 v14, -0.5, v18, v40
	v_dual_add_f32 v15, v81, v50 :: v_dual_sub_f32 v40, v46, v81
	v_dual_fmac_f32 v16, 0x3e9e377a, v51 :: v_dual_fmac_f32 v17, 0x3e9e377a, v52
	s_delay_alu instid0(VALU_DEP_3) | instskip(SKIP_1) | instid1(VALU_DEP_4)
	v_fmamk_f32 v18, v55, 0xbf737871, v14
	v_fmac_f32_e32 v14, 0x3f737871, v55
	v_fma_f32 v15, -0.5, v15, v41
	v_sub_f32_e32 v41, v48, v50
	ds_store_b64 v53, v[16:17] offset:480
	v_fmac_f32_e32 v18, 0x3f167918, v54
	v_fmac_f32_e32 v14, 0xbf167918, v54
	v_sub_f32_e32 v16, v9, v11
	v_add_f32_e32 v40, v40, v41
	s_delay_alu instid0(VALU_DEP_4) | instskip(NEXT) | instid1(VALU_DEP_4)
	v_dual_add_f32 v17, v0, v10 :: v_dual_fmac_f32 v18, 0x3e9e377a, v19
	v_fmac_f32_e32 v14, 0x3e9e377a, v19
	v_fmamk_f32 v19, v57, 0x3f737871, v15
	v_fmac_f32_e32 v15, 0xbf737871, v57
	v_dual_add_f32 v41, v43, v0 :: v_dual_sub_f32 v46, v5, v11
	s_delay_alu instid0(VALU_DEP_3) | instskip(NEXT) | instid1(VALU_DEP_3)
	v_dual_mov_b32 v72, v199 :: v_dual_fmac_f32 v19, 0xbf167918, v56
	v_dual_fmac_f32 v15, 0x3f167918, v56 :: v_dual_mov_b32 v88, v84
	s_delay_alu instid0(VALU_DEP_2) | instskip(NEXT) | instid1(VALU_DEP_2)
	v_dual_mov_b32 v90, v86 :: v_dual_fmac_f32 v19, 0x3e9e377a, v40
	v_dual_fmac_f32 v15, 0x3e9e377a, v40 :: v_dual_sub_f32 v40, v0, v10
	ds_store_2addr_b64 v53, v[18:19], v[14:15] offset0:30 offset1:45
	v_dual_add_f32 v14, v7, v9 :: v_dual_add_f32 v15, v5, v11
	v_add_f32_e32 v18, v42, v5
	v_sub_f32_e32 v19, v6, v8
	s_delay_alu instid0(VALU_DEP_3) | instskip(NEXT) | instid1(VALU_DEP_4)
	v_fma_f32 v14, -0.5, v14, v42
	v_fma_f32 v42, -0.5, v15, v42
	v_sub_f32_e32 v15, v7, v5
	v_sub_f32_e32 v5, v5, v7
	v_add_f32_e32 v7, v18, v7
	s_delay_alu instid0(VALU_DEP_3) | instskip(SKIP_1) | instid1(VALU_DEP_3)
	v_add_f32_e32 v15, v15, v16
	v_fmamk_f32 v16, v19, 0xbf737871, v42
	v_dual_fmac_f32 v42, 0x3f737871, v19 :: v_dual_add_f32 v7, v7, v9
	s_delay_alu instid0(VALU_DEP_2) | instskip(NEXT) | instid1(VALU_DEP_2)
	v_dual_sub_f32 v9, v11, v9 :: v_dual_fmac_f32 v16, 0x3f167918, v40
	v_dual_fmac_f32 v42, 0xbf167918, v40 :: v_dual_add_f32 v11, v7, v11
	s_delay_alu instid0(VALU_DEP_2) | instskip(SKIP_1) | instid1(VALU_DEP_4)
	v_add_f32_e32 v7, v5, v9
	v_fmamk_f32 v5, v40, 0x3f737871, v14
	v_fmac_f32_e32 v16, 0x3e9e377a, v15
	s_delay_alu instid0(VALU_DEP_4) | instskip(SKIP_1) | instid1(VALU_DEP_4)
	v_dual_fmac_f32 v42, 0x3e9e377a, v15 :: v_dual_add_f32 v15, v6, v8
	v_fmac_f32_e32 v14, 0xbf737871, v40
	v_fmac_f32_e32 v5, 0x3f167918, v19
	s_delay_alu instid0(VALU_DEP_3) | instskip(SKIP_2) | instid1(VALU_DEP_4)
	v_fma_f32 v15, -0.5, v15, v43
	v_fmac_f32_e32 v43, -0.5, v17
	v_dual_sub_f32 v17, v6, v0 :: v_dual_sub_f32 v0, v0, v6
	v_fmac_f32_e32 v5, 0x3e9e377a, v7
	s_delay_alu instid0(VALU_DEP_2) | instskip(NEXT) | instid1(VALU_DEP_4)
	v_dual_fmac_f32 v14, 0xbf167918, v19 :: v_dual_add_f32 v45, v17, v45
	v_fmamk_f32 v17, v13, 0x3f737871, v43
	v_fmac_f32_e32 v43, 0xbf737871, v13
	s_delay_alu instid0(VALU_DEP_3) | instskip(NEXT) | instid1(VALU_DEP_3)
	v_fmac_f32_e32 v14, 0x3e9e377a, v7
	v_fmac_f32_e32 v17, 0xbf167918, v46
	s_delay_alu instid0(VALU_DEP_3) | instskip(NEXT) | instid1(VALU_DEP_2)
	v_fmac_f32_e32 v43, 0x3f167918, v46
	v_fmac_f32_e32 v17, 0x3e9e377a, v45
	s_delay_alu instid0(VALU_DEP_2)
	v_fmac_f32_e32 v43, 0x3e9e377a, v45
	v_dual_mul_f32 v12, v37, v141 :: v_dual_lshlrev_b32 v45, 3, v12
	ds_store_2addr_b64 v45, v[16:17], v[42:43] offset0:30 offset1:45
	v_fma_f32 v16, v36, v140, -v12
	v_mul_f32_e32 v12, v39, v137
	v_mul_f32_e32 v17, v36, v141
	scratch_store_b32 off, v45, off offset:484 ; 4-byte Folded Spill
	v_fma_f32 v36, v38, v136, -v12
	v_mul_f32_e32 v12, v33, v143
	v_fmac_f32_e32 v17, v37, v140
	v_mul_f32_e32 v37, v38, v137
	s_delay_alu instid0(VALU_DEP_3) | instskip(SKIP_2) | instid1(VALU_DEP_2)
	v_fma_f32 v38, v32, v142, -v12
	v_mul_f32_e32 v32, v32, v143
	v_mul_f32_e32 v12, v35, v139
	v_dual_fmac_f32 v37, v39, v136 :: v_dual_fmac_f32 v32, v33, v142
	s_delay_alu instid0(VALU_DEP_2) | instskip(SKIP_2) | instid1(VALU_DEP_3)
	v_fma_f32 v33, v34, v138, -v12
	v_mul_f32_e32 v34, v34, v139
	v_mul_f32_e32 v12, v29, v133
	v_dual_sub_f32 v9, v17, v32 :: v_dual_sub_f32 v2, v36, v33
	s_delay_alu instid0(VALU_DEP_3) | instskip(NEXT) | instid1(VALU_DEP_3)
	v_fmac_f32_e32 v34, v35, v138
	v_fma_f32 v35, v28, v132, -v12
	v_mul_f32_e32 v28, v28, v133
	s_delay_alu instid0(VALU_DEP_2) | instskip(NEXT) | instid1(VALU_DEP_2)
	v_dual_mul_f32 v12, v31, v129 :: v_dual_add_f32 v7, v38, v35
	v_fmac_f32_e32 v28, v29, v132
	s_delay_alu instid0(VALU_DEP_2) | instskip(SKIP_3) | instid1(VALU_DEP_3)
	v_fma_f32 v29, v30, v128, -v12
	v_mul_f32_e32 v30, v30, v129
	v_mul_f32_e32 v12, v25, v135
	v_fma_f32 v7, -0.5, v7, v20
	v_fmac_f32_e32 v30, v31, v128
	s_delay_alu instid0(VALU_DEP_3) | instskip(SKIP_2) | instid1(VALU_DEP_2)
	v_fma_f32 v31, v24, v134, -v12
	v_mul_f32_e32 v24, v24, v135
	v_mul_f32_e32 v12, v27, v131
	v_fmac_f32_e32 v24, v25, v134
	s_delay_alu instid0(VALU_DEP_2) | instskip(SKIP_3) | instid1(VALU_DEP_3)
	v_fma_f32 v25, v26, v130, -v12
	v_add_f32_e32 v12, v41, v6
	v_sub_f32_e32 v6, v10, v8
	v_mul_f32_e32 v26, v26, v131
	v_add_f32_e32 v12, v12, v8
	s_delay_alu instid0(VALU_DEP_3) | instskip(SKIP_2) | instid1(VALU_DEP_4)
	v_add_f32_e32 v0, v0, v6
	v_fmamk_f32 v6, v46, 0xbf737871, v15
	v_dual_fmac_f32 v15, 0x3f737871, v46 :: v_dual_add_f32 v8, v32, v28
	v_add_f32_e32 v12, v12, v10
	v_sub_f32_e32 v10, v24, v28
	s_delay_alu instid0(VALU_DEP_4) | instskip(NEXT) | instid1(VALU_DEP_4)
	v_fmac_f32_e32 v6, 0xbf167918, v13
	v_fmac_f32_e32 v15, 0x3f167918, v13
	v_fma_f32 v8, -0.5, v8, v21
	v_sub_f32_e32 v13, v16, v31
	s_delay_alu instid0(VALU_DEP_4) | instskip(NEXT) | instid1(VALU_DEP_4)
	v_dual_add_f32 v9, v9, v10 :: v_dual_fmac_f32 v6, 0x3e9e377a, v0
	v_dual_fmac_f32 v15, 0x3e9e377a, v0 :: v_dual_sub_f32 v0, v16, v38
	v_mad_u16 v10, 0x4b, v3, v4
	s_delay_alu instid0(VALU_DEP_4)
	v_fmamk_f32 v4, v13, 0xbf737871, v8
	ds_store_2addr_b64 v45, v[11:12], v[5:6] offset1:15
	v_dual_sub_f32 v5, v31, v35 :: v_dual_add_f32 v6, v21, v17
	v_sub_f32_e32 v11, v17, v24
	ds_store_b64 v45, v[14:15] offset:480
	v_sub_f32_e32 v12, v32, v28
	v_add_f32_e32 v0, v0, v5
	v_add_f32_e32 v5, v20, v16
	v_dual_add_f32 v6, v6, v32 :: v_dual_fmamk_f32 v3, v11, 0x3f737871, v7
	v_sub_f32_e32 v14, v38, v35
	v_and_b32_e32 v10, 0xffff, v10
	s_delay_alu instid0(VALU_DEP_3) | instskip(NEXT) | instid1(VALU_DEP_4)
	v_dual_add_f32 v5, v5, v38 :: v_dual_add_f32 v6, v6, v28
	v_fmac_f32_e32 v3, 0x3f167918, v12
	s_delay_alu instid0(VALU_DEP_4) | instskip(NEXT) | instid1(VALU_DEP_3)
	v_fmac_f32_e32 v4, 0xbf167918, v14
	v_dual_add_f32 v5, v5, v35 :: v_dual_lshlrev_b32 v18, 3, v10
	s_delay_alu instid0(VALU_DEP_4) | instskip(NEXT) | instid1(VALU_DEP_3)
	v_add_f32_e32 v6, v6, v24
	v_dual_fmac_f32 v3, 0x3e9e377a, v0 :: v_dual_fmac_f32 v4, 0x3e9e377a, v9
	s_delay_alu instid0(VALU_DEP_3)
	v_dual_sub_f32 v10, v32, v17 :: v_dual_add_f32 v5, v5, v31
	v_sub_f32_e32 v15, v28, v24
	v_fmac_f32_e32 v7, 0xbf737871, v11
	v_fmac_f32_e32 v8, 0x3f737871, v13
	;; [unrolled: 1-line block ×3, first 2 shown]
	ds_store_2addr_b64 v18, v[5:6], v[3:4] offset1:15
	v_dual_sub_f32 v3, v38, v16 :: v_dual_sub_f32 v4, v35, v31
	v_add_f32_e32 v5, v16, v31
	v_dual_add_f32 v10, v10, v15 :: v_dual_fmac_f32 v7, 0xbf167918, v12
	v_fmac_f32_e32 v8, 0x3f167918, v14
	s_delay_alu instid0(VALU_DEP_4) | instskip(NEXT) | instid1(VALU_DEP_4)
	v_add_f32_e32 v6, v3, v4
	v_fma_f32 v3, -0.5, v5, v20
	v_add_f32_e32 v4, v17, v24
	s_delay_alu instid0(VALU_DEP_4) | instskip(NEXT) | instid1(VALU_DEP_3)
	v_dual_fmac_f32 v7, 0x3e9e377a, v0 :: v_dual_fmac_f32 v8, 0x3e9e377a, v9
	v_dual_add_f32 v0, v33, v29 :: v_dual_fmamk_f32 v5, v12, 0xbf737871, v3
	v_fmac_f32_e32 v3, 0x3f737871, v12
	s_delay_alu instid0(VALU_DEP_4)
	v_fma_f32 v4, -0.5, v4, v21
	ds_store_b64 v18, v[7:8] offset:480
	v_sub_f32_e32 v7, v34, v30
	v_fmac_f32_e32 v5, 0x3f167918, v11
	v_dual_fmac_f32 v3, 0xbf167918, v11 :: v_dual_sub_f32 v8, v37, v26
	v_add_f32_e32 v9, v23, v37
	v_sub_f32_e32 v11, v36, v25
	s_delay_alu instid0(VALU_DEP_4) | instskip(NEXT) | instid1(VALU_DEP_4)
	v_fmac_f32_e32 v5, 0x3e9e377a, v6
	v_fmac_f32_e32 v3, 0x3e9e377a, v6
	v_fmamk_f32 v6, v14, 0x3f737871, v4
	v_fmac_f32_e32 v4, 0xbf737871, v14
	s_clause 0x1
	scratch_store_b32 off, v64, off offset:432
	scratch_store_b32 off, v18, off offset:488
	v_mov_b32_e32 v64, v162
	v_fmac_f32_e32 v6, 0xbf167918, v13
	v_fmac_f32_e32 v4, 0x3f167918, v13
	s_clause 0x1
	scratch_store_b32 off, v53, off offset:428
	scratch_store_b32 off, v64, off offset:248
	v_fmac_f32_e32 v6, 0x3e9e377a, v10
	v_fmac_f32_e32 v4, 0x3e9e377a, v10
	v_sub_f32_e32 v10, v30, v26
	ds_store_2addr_b64 v18, v[5:6], v[3:4] offset0:30 offset1:45
	v_dual_add_f32 v4, v36, v25 :: v_dual_add_f32 v5, v22, v36
	v_fma_f32 v3, -0.5, v0, v22
	v_sub_f32_e32 v0, v33, v36
	v_add_f32_e32 v6, v37, v26
	s_delay_alu instid0(VALU_DEP_4) | instskip(SKIP_1) | instid1(VALU_DEP_1)
	v_fma_f32 v22, -0.5, v4, v22
	v_sub_f32_e32 v4, v29, v25
	v_add_f32_e32 v4, v0, v4
	s_delay_alu instid0(VALU_DEP_3) | instskip(SKIP_1) | instid1(VALU_DEP_2)
	v_fmamk_f32 v0, v7, 0xbf737871, v22
	v_fmac_f32_e32 v22, 0x3f737871, v7
	v_fmac_f32_e32 v0, 0x3f167918, v8
	s_delay_alu instid0(VALU_DEP_2) | instskip(NEXT) | instid1(VALU_DEP_2)
	v_fmac_f32_e32 v22, 0xbf167918, v8
	v_fmac_f32_e32 v0, 0x3e9e377a, v4
	s_delay_alu instid0(VALU_DEP_2) | instskip(SKIP_1) | instid1(VALU_DEP_1)
	v_fmac_f32_e32 v22, 0x3e9e377a, v4
	v_add_f32_e32 v4, v34, v30
	v_fma_f32 v4, -0.5, v4, v23
	v_dual_fmac_f32 v23, -0.5, v6 :: v_dual_sub_f32 v6, v34, v37
	s_delay_alu instid0(VALU_DEP_1) | instskip(SKIP_1) | instid1(VALU_DEP_1)
	v_add_f32_e32 v6, v6, v10
	v_sub_f32_e32 v10, v33, v29
	v_fmamk_f32 v1, v10, 0x3f737871, v23
	v_fmac_f32_e32 v23, 0xbf737871, v10
	s_delay_alu instid0(VALU_DEP_2) | instskip(NEXT) | instid1(VALU_DEP_2)
	v_fmac_f32_e32 v1, 0xbf167918, v11
	v_fmac_f32_e32 v23, 0x3f167918, v11
	s_delay_alu instid0(VALU_DEP_2) | instskip(NEXT) | instid1(VALU_DEP_2)
	v_fmac_f32_e32 v1, 0x3e9e377a, v6
	v_fmac_f32_e32 v23, 0x3e9e377a, v6
	v_sub_f32_e32 v6, v37, v34
	ds_store_2addr_b64 v208, v[0:1], v[22:23] offset0:30 offset1:45
	v_add_f32_e32 v0, v5, v33
	v_add_f32_e32 v1, v9, v34
	v_sub_f32_e32 v5, v25, v29
	s_delay_alu instid0(VALU_DEP_3) | instskip(NEXT) | instid1(VALU_DEP_2)
	v_dual_sub_f32 v9, v26, v30 :: v_dual_add_f32 v0, v0, v29
	v_dual_add_f32 v1, v1, v30 :: v_dual_add_f32 v2, v2, v5
	s_delay_alu instid0(VALU_DEP_2) | instskip(SKIP_2) | instid1(VALU_DEP_4)
	v_add_f32_e32 v9, v6, v9
	v_fmamk_f32 v5, v8, 0x3f737871, v3
	v_fmamk_f32 v6, v11, 0xbf737871, v4
	v_dual_add_f32 v0, v0, v25 :: v_dual_add_f32 v1, v1, v26
	v_fmac_f32_e32 v3, 0xbf737871, v8
	s_delay_alu instid0(VALU_DEP_4) | instskip(NEXT) | instid1(VALU_DEP_4)
	v_fmac_f32_e32 v5, 0x3f167918, v7
	v_fmac_f32_e32 v6, 0xbf167918, v10
	;; [unrolled: 1-line block ×3, first 2 shown]
	s_delay_alu instid0(VALU_DEP_4) | instskip(NEXT) | instid1(VALU_DEP_3)
	v_fmac_f32_e32 v3, 0xbf167918, v7
	v_dual_fmac_f32 v5, 0x3e9e377a, v2 :: v_dual_fmac_f32 v6, 0x3e9e377a, v9
	s_delay_alu instid0(VALU_DEP_3) | instskip(NEXT) | instid1(VALU_DEP_3)
	v_fmac_f32_e32 v4, 0x3f167918, v10
	v_fmac_f32_e32 v3, 0x3e9e377a, v2
	ds_store_2addr_b64 v208, v[0:1], v[5:6] offset1:15
	v_add_nc_u32_e32 v0, 0xffffffb5, v162
	s_delay_alu instid0(VALU_DEP_1)
	v_dual_fmac_f32 v4, 0x3e9e377a, v9 :: v_dual_cndmask_b32 v181, v0, v162
	ds_store_b64 v208, v[3:4] offset:480
	global_wb scope:SCOPE_SE
	s_wait_storecnt_dscnt 0x0
	s_barrier_signal -1
	s_barrier_wait -1
	v_mul_i32_i24_e32 v0, 0x48, v181
	v_mul_hi_i32_i24_e32 v1, 0x48, v181
	global_inv scope:SCOPE_SE
	v_add_co_u32 v4, vcc_lo, s10, v0
	s_wait_alu 0xfffd
	v_add_co_ci_u32_e32 v5, vcc_lo, s11, v1, vcc_lo
	v_mul_lo_u16 v0, 0xdb, v44
	v_cmp_lt_u16_e64 vcc_lo, 0x4a, v160
	s_clause 0x1
	global_load_b128 v[44:47], v[4:5], off offset:576
	global_load_b128 v[13:16], v[4:5], off offset:592
	v_lshrrev_b16 v166, 14, v0
	s_delay_alu instid0(VALU_DEP_1) | instskip(NEXT) | instid1(VALU_DEP_1)
	v_mul_lo_u16 v0, 0x4b, v166
	v_sub_nc_u16 v0, v161, v0
	s_delay_alu instid0(VALU_DEP_1)
	v_and_b32_e32 v35, 0xff, v0
	ds_load_2addr_b64 v[0:3], v86 offset0:110 offset1:235
	v_mad_co_u64_u32 v[10:11], null, 0x48, v35, s[10:11]
	s_wait_loadcnt_dscnt 0x100
	v_mul_f32_e32 v6, v1, v47
	v_mul_f32_e32 v178, v0, v47
	s_delay_alu instid0(VALU_DEP_2)
	v_fma_f32 v184, v0, v46, -v6
	s_clause 0x1
	global_load_b64 v[48:49], v[4:5], off offset:640
	global_load_b128 v[6:9], v[10:11], off offset:576
	v_fmac_f32_e32 v178, v1, v46
	s_wait_loadcnt 0x0
	v_mul_f32_e32 v0, v3, v9
	v_mul_f32_e32 v176, v2, v9
	v_dual_mov_b32 v24, v9 :: v_dual_mov_b32 v23, v8
	v_mov_b32_e32 v22, v7
	s_delay_alu instid0(VALU_DEP_4) | instskip(NEXT) | instid1(VALU_DEP_4)
	v_fma_f32 v177, v2, v8, -v0
	v_fmac_f32_e32 v176, v3, v8
	ds_load_2addr_b64 v[0:3], v79 offset0:92 offset1:217
	s_clause 0x3
	global_load_b128 v[27:30], v[10:11], off offset:592
	global_load_b128 v[251:254], v[10:11], off offset:608
	;; [unrolled: 1-line block ×4, first 2 shown]
	v_mov_b32_e32 v21, v6
	v_mov_b32_e32 v26, v24
	v_dual_mov_b32 v25, v23 :: v_dual_mov_b32 v24, v22
	s_delay_alu instid0(VALU_DEP_3) | instskip(SKIP_3) | instid1(VALU_DEP_2)
	v_mov_b32_e32 v23, v21
	s_wait_dscnt 0x0
	v_mul_f32_e32 v6, v1, v16
	v_mul_f32_e32 v9, v0, v16
	v_fma_f32 v19, v0, v15, -v6
	s_wait_loadcnt 0x3
	s_delay_alu instid0(VALU_DEP_2) | instskip(SKIP_1) | instid1(VALU_DEP_2)
	v_dual_fmac_f32 v9, v1, v15 :: v_dual_mul_f32 v0, v3, v30
	v_mul_f32_e32 v180, v2, v30
	v_fma_f32 v182, v2, v29, -v0
	s_delay_alu instid0(VALU_DEP_2) | instskip(SKIP_4) | instid1(VALU_DEP_2)
	v_fmac_f32_e32 v180, v3, v29
	ds_load_2addr_b64 v[0:3], v197 offset0:74 offset1:199
	s_wait_loadcnt_dscnt 0x100
	v_mul_f32_e32 v4, v1, v55
	v_dual_mul_f32 v6, v0, v55 :: v_dual_mul_f32 v185, v2, v254
	v_fma_f32 v12, v0, v54, -v4
	v_mul_f32_e32 v0, v3, v254
	s_delay_alu instid0(VALU_DEP_3) | instskip(NEXT) | instid1(VALU_DEP_2)
	v_dual_fmac_f32 v6, v1, v54 :: v_dual_fmac_f32 v185, v3, v253
	v_fma_f32 v186, v2, v253, -v0
	ds_load_2addr_b64 v[0:3], v84 offset0:56 offset1:181
	s_clause 0x1
	global_load_b64 v[50:51], v[10:11], off offset:640
	global_load_b128 v[215:218], v[10:11], off offset:624
	scratch_store_b128 off, v[23:26], off offset:436 ; 16-byte Folded Spill
	v_sub_f32_e32 v56, v9, v6
	s_wait_loadcnt_dscnt 0x200
	v_mul_f32_e32 v4, v1, v236
	v_mul_f32_e32 v7, v0, v236
	s_delay_alu instid0(VALU_DEP_2) | instskip(NEXT) | instid1(VALU_DEP_1)
	v_fma_f32 v20, v0, v235, -v4
	v_dual_fmac_f32 v7, v1, v235 :: v_dual_sub_f32 v58, v184, v20
	s_wait_loadcnt 0x0
	v_mul_f32_e32 v0, v3, v218
	v_mul_f32_e32 v187, v2, v218
	s_delay_alu instid0(VALU_DEP_2) | instskip(SKIP_1) | instid1(VALU_DEP_3)
	v_fma_f32 v188, v2, v217, -v0
	v_mul_u32_u24_e32 v0, 0xb4e9, v60
	v_fmac_f32_e32 v187, v3, v217
	v_sub_f32_e32 v60, v19, v12
	s_delay_alu instid0(VALU_DEP_3) | instskip(NEXT) | instid1(VALU_DEP_1)
	v_lshrrev_b32_e32 v0, 16, v0
	v_sub_nc_u16 v1, v168, v0
	s_delay_alu instid0(VALU_DEP_1) | instskip(NEXT) | instid1(VALU_DEP_1)
	v_lshrrev_b16 v1, 1, v1
	v_add_nc_u16 v0, v1, v0
	s_delay_alu instid0(VALU_DEP_1) | instskip(NEXT) | instid1(VALU_DEP_1)
	v_lshrrev_b16 v43, 6, v0
	v_mul_lo_u16 v0, 0x4b, v43
	s_delay_alu instid0(VALU_DEP_1) | instskip(NEXT) | instid1(VALU_DEP_1)
	v_sub_nc_u16 v164, v168, v0
	v_mul_lo_u16 v0, 0x48, v164
	s_delay_alu instid0(VALU_DEP_1)
	v_and_b32_e32 v4, 0xffff, v0
	ds_load_2addr_b64 v[0:3], v201 offset0:116 offset1:241
	v_add_co_u32 v21, s12, s10, v4
	s_wait_alu 0xf1ff
	v_add_co_ci_u32_e64 v22, null, s11, 0, s12
	s_clause 0x1
	global_load_b128 v[245:248], v[21:22], off offset:576
	global_load_b128 v[225:228], v[21:22], off offset:592
	s_clause 0x2
	scratch_store_b128 off, v[13:16], off offset:452
	scratch_store_b128 off, v[27:30], off offset:468
	;; [unrolled: 1-line block ×3, first 2 shown]
	s_wait_dscnt 0x0
	v_dual_sub_f32 v54, v178, v7 :: v_dual_mul_f32 v5, v1, v24
	v_mul_f32_e32 v183, v0, v24
	s_delay_alu instid0(VALU_DEP_2) | instskip(SKIP_1) | instid1(VALU_DEP_2)
	v_fma_f32 v179, v0, v23, -v5
	s_wait_loadcnt 0x1
	v_dual_fmac_f32 v183, v1, v23 :: v_dual_mul_f32 v0, v3, v246
	v_mul_f32_e32 v34, v2, v246
	s_delay_alu instid0(VALU_DEP_2) | instskip(NEXT) | instid1(VALU_DEP_2)
	v_fma_f32 v32, v2, v245, -v0
	v_fmac_f32_e32 v34, v3, v245
	ds_load_2addr_b64 v[0:3], v85 offset0:104 offset1:229
	s_wait_dscnt 0x0
	v_mul_f32_e32 v4, v3, v14
	v_mul_f32_e32 v10, v2, v14
	;; [unrolled: 1-line block ×3, first 2 shown]
	ds_load_2addr_b64 v[14:17], v207 offset0:86 offset1:211
	v_fma_f32 v24, v2, v13, -v4
	v_mul_f32_e32 v2, v1, v248
	v_fmac_f32_e32 v10, v3, v13
	v_fmac_f32_e32 v38, v1, v247
	s_delay_alu instid0(VALU_DEP_3) | instskip(SKIP_3) | instid1(VALU_DEP_1)
	v_fma_f32 v39, v0, v247, -v2
	ds_load_2addr_b64 v[0:3], v76 offset0:98 offset1:223
	s_wait_loadcnt_dscnt 0x1
	v_mul_f32_e32 v42, v14, v228
	v_fmac_f32_e32 v42, v15, v227
	s_wait_dscnt 0x0
	v_mul_f32_e32 v4, v1, v28
	v_dual_mul_f32 v189, v0, v28 :: v_dual_mul_f32 v36, v2, v226
	s_delay_alu instid0(VALU_DEP_2) | instskip(SKIP_1) | instid1(VALU_DEP_3)
	v_fma_f32 v190, v0, v27, -v4
	v_mul_f32_e32 v0, v3, v226
	v_dual_mul_f32 v4, v16, v53 :: v_dual_fmac_f32 v189, v1, v27
	v_add_f32_e32 v27, v9, v6
	s_delay_alu instid0(VALU_DEP_3) | instskip(SKIP_1) | instid1(VALU_DEP_4)
	v_fma_f32 v37, v2, v225, -v0
	v_mul_f32_e32 v0, v17, v53
	v_fmac_f32_e32 v4, v17, v52
	s_delay_alu instid0(VALU_DEP_2) | instskip(SKIP_1) | instid1(VALU_DEP_1)
	v_fma_f32 v13, v16, v52, -v0
	v_mul_f32_e32 v0, v15, v228
	v_fma_f32 v162, v14, v227, -v0
	ds_load_2addr_b64 v[14:17], v202 offset0:80 offset1:205
	s_clause 0x2
	global_load_b128 v[108:111], v[21:22], off offset:608
	global_load_b128 v[112:115], v[21:22], off offset:624
	global_load_b64 v[1:2], v[21:22], off offset:640
	ds_load_2addr_b64 v[28:31], v220 offset0:62 offset1:187
	s_clause 0x1
	scratch_store_b64 off, v[48:49], off offset:492
	scratch_store_b64 off, v[50:51], off offset:524
	s_wait_dscnt 0x1
	v_mul_f32_e32 v0, v15, v252
	v_mul_f32_e32 v191, v14, v252
	s_wait_dscnt 0x0
	v_mul_f32_e32 v5, v28, v216
	s_delay_alu instid0(VALU_DEP_3) | instskip(NEXT) | instid1(VALU_DEP_3)
	v_fma_f32 v255, v14, v251, -v0
	v_fmac_f32_e32 v191, v15, v251
	s_delay_alu instid0(VALU_DEP_3)
	v_fmac_f32_e32 v5, v29, v215
	s_wait_loadcnt 0x2
	v_mul_f32_e32 v0, v17, v109
	v_mul_f32_e32 v40, v16, v109
	s_wait_loadcnt 0x1
	v_mul_f32_e32 v163, v30, v113
	s_wait_loadcnt 0x0
	scratch_store_b64 off, v[1:2], off offset:516 ; 8-byte Folded Spill
	v_fma_f32 v41, v16, v108, -v0
	v_fmac_f32_e32 v40, v17, v108
	ds_load_2addr_b64 v[15:18], v77 offset0:68 offset1:193
	v_fmac_f32_e32 v163, v31, v112
	v_fmac_f32_e32 v36, v3, v225
	s_wait_dscnt 0x0
	v_dual_mul_f32 v0, v18, v234 :: v_dual_mul_f32 v169, v15, v111
	v_mul_f32_e32 v14, v17, v234
	s_delay_alu instid0(VALU_DEP_2) | instskip(SKIP_1) | instid1(VALU_DEP_4)
	v_fma_f32 v23, v17, v233, -v0
	v_mul_f32_e32 v0, v16, v111
	v_fmac_f32_e32 v169, v16, v110
	s_delay_alu instid0(VALU_DEP_2) | instskip(SKIP_1) | instid1(VALU_DEP_1)
	v_fma_f32 v170, v15, v110, -v0
	v_mul_f32_e32 v0, v29, v216
	v_fma_f32 v16, v28, v215, -v0
	v_mul_f32_e32 v0, v31, v113
	s_delay_alu instid0(VALU_DEP_1)
	v_fma_f32 v165, v30, v112, -v0
	ds_load_2addr_b64 v[28:31], v78 offset0:50 offset1:175
	s_wait_dscnt 0x0
	v_mul_f32_e32 v0, v31, v49
	v_mul_f32_e32 v214, v30, v49
	;; [unrolled: 1-line block ×3, first 2 shown]
	s_delay_alu instid0(VALU_DEP_3) | instskip(SKIP_1) | instid1(VALU_DEP_4)
	v_fma_f32 v11, v30, v48, -v0
	v_mul_f32_e32 v0, v29, v115
	v_fmac_f32_e32 v214, v31, v48
	s_delay_alu instid0(VALU_DEP_4)
	v_fmac_f32_e32 v174, v29, v114
	v_mov_b32_e32 v48, v47
	v_mov_b32_e32 v47, v46
	v_fma_f32 v175, v28, v114, -v0
	ds_load_2addr_b64 v[28:31], v203 offset0:44 offset1:169
	v_mov_b32_e32 v46, v45
	v_mov_b32_e32 v45, v44
	scratch_store_b128 off, v[45:48], off offset:564 ; 16-byte Folded Spill
	v_dual_sub_f32 v48, v10, v214 :: v_dual_sub_f32 v47, v13, v23
	s_wait_dscnt 0x0
	v_mul_f32_e32 v0, v29, v51
	v_dual_mul_f32 v8, v28, v51 :: v_dual_mul_f32 v171, v30, v2
	s_delay_alu instid0(VALU_DEP_2) | instskip(SKIP_1) | instid1(VALU_DEP_3)
	v_fma_f32 v15, v28, v50, -v0
	v_mul_f32_e32 v0, v31, v2
	v_dual_fmac_f32 v8, v29, v50 :: v_dual_fmac_f32 v171, v31, v1
	s_delay_alu instid0(VALU_DEP_2)
	v_fma_f32 v173, v30, v1, -v0
	v_sub_f32_e32 v0, v184, v19
	v_sub_f32_e32 v1, v20, v12
	ds_load_2addr_b64 v[28:31], v204 offset0:122 offset1:247
	v_fmac_f32_e32 v14, v18, v233
	v_add_f32_e32 v33, v0, v1
	v_dual_sub_f32 v0, v178, v9 :: v_dual_sub_f32 v1, v7, v6
	s_delay_alu instid0(VALU_DEP_3) | instskip(NEXT) | instid1(VALU_DEP_2)
	v_sub_f32_e32 v49, v4, v14
	v_add_f32_e32 v17, v0, v1
	v_dual_sub_f32 v0, v24, v13 :: v_dual_sub_f32 v1, v11, v23
	s_delay_alu instid0(VALU_DEP_1) | instskip(SKIP_3) | instid1(VALU_DEP_1)
	v_add_f32_e32 v18, v0, v1
	v_sub_f32_e32 v0, v10, v4
	v_sub_f32_e32 v1, v214, v14
	s_wait_dscnt 0x0
	v_dual_add_f32 v25, v0, v1 :: v_dual_mul_f32 v0, v31, v46
	s_delay_alu instid0(VALU_DEP_1) | instskip(SKIP_3) | instid1(VALU_DEP_4)
	v_fma_f32 v44, v30, v45, -v0
	v_mul_f32_e32 v30, v30, v46
	v_add_f32_e32 v0, v13, v23
	v_sub_f32_e32 v46, v24, v11
	v_add_f32_e32 v22, v44, v24
	s_delay_alu instid0(VALU_DEP_4) | instskip(NEXT) | instid1(VALU_DEP_4)
	v_fmac_f32_e32 v30, v31, v45
	v_fma_f32 v31, -0.5, v0, v44
	v_add_f32_e32 v0, v4, v14
	s_delay_alu instid0(VALU_DEP_4) | instskip(NEXT) | instid1(VALU_DEP_3)
	v_add_f32_e32 v22, v22, v13
	v_dual_add_f32 v26, v30, v10 :: v_dual_fmamk_f32 v1, v48, 0x3f737871, v31
	s_delay_alu instid0(VALU_DEP_3) | instskip(NEXT) | instid1(VALU_DEP_3)
	v_fma_f32 v45, -0.5, v0, v30
	v_dual_fmac_f32 v31, 0xbf737871, v48 :: v_dual_add_f32 v22, v22, v23
	s_delay_alu instid0(VALU_DEP_3) | instskip(NEXT) | instid1(VALU_DEP_3)
	v_dual_add_f32 v26, v26, v4 :: v_dual_fmac_f32 v1, 0x3f167918, v49
	v_fmamk_f32 v0, v46, 0xbf737871, v45
	s_delay_alu instid0(VALU_DEP_3) | instskip(NEXT) | instid1(VALU_DEP_4)
	v_dual_fmac_f32 v45, 0x3f737871, v46 :: v_dual_add_f32 v62, v22, v11
	v_fmac_f32_e32 v31, 0xbf167918, v49
	s_delay_alu instid0(VALU_DEP_4) | instskip(NEXT) | instid1(VALU_DEP_4)
	v_fmac_f32_e32 v1, 0x3e9e377a, v18
	v_fmac_f32_e32 v0, 0xbf167918, v47
	s_delay_alu instid0(VALU_DEP_4) | instskip(NEXT) | instid1(VALU_DEP_4)
	v_dual_fmac_f32 v45, 0x3f167918, v47 :: v_dual_add_f32 v26, v26, v14
	v_fmac_f32_e32 v31, 0x3e9e377a, v18
	s_delay_alu instid0(VALU_DEP_4) | instskip(NEXT) | instid1(VALU_DEP_4)
	v_mul_f32_e32 v51, 0xbf167918, v1
	v_fmac_f32_e32 v0, 0x3e9e377a, v25
	s_delay_alu instid0(VALU_DEP_4) | instskip(SKIP_1) | instid1(VALU_DEP_3)
	v_fmac_f32_e32 v45, 0x3e9e377a, v25
	v_add_f32_e32 v63, v26, v214
	v_dual_sub_f32 v25, v176, v187 :: v_dual_mul_f32 v50, 0x3f167918, v0
	v_fmac_f32_e32 v51, 0x3f4f1bbd, v0
	s_wait_alu 0xfffd
	v_cndmask_b32_e64 v0, 0, 0x2ee, vcc_lo
	s_delay_alu instid0(VALU_DEP_3) | instskip(NEXT) | instid1(VALU_DEP_2)
	v_fmac_f32_e32 v50, 0x3f4f1bbd, v1
	v_add_lshl_u32 v65, v181, v0, 3
	ds_load_2addr_b64 v[0:3], v196 offset1:125
	global_wb scope:SCOPE_SE
	s_wait_storecnt_dscnt 0x0
	s_barrier_signal -1
	s_barrier_wait -1
	global_inv scope:SCOPE_SE
	v_dual_add_f32 v21, v0, v184 :: v_dual_add_nc_u32 v18, 0x800, v65
	v_fma_f32 v57, -0.5, v27, v1
	s_delay_alu instid0(VALU_DEP_2) | instskip(NEXT) | instid1(VALU_DEP_2)
	v_add_f32_e32 v21, v21, v19
	v_fmamk_f32 v59, v58, 0xbf737871, v57
	v_fmac_f32_e32 v57, 0x3f737871, v58
	s_delay_alu instid0(VALU_DEP_3) | instskip(NEXT) | instid1(VALU_DEP_3)
	v_add_f32_e32 v21, v21, v12
	v_fmac_f32_e32 v59, 0xbf167918, v60
	s_delay_alu instid0(VALU_DEP_3) | instskip(NEXT) | instid1(VALU_DEP_3)
	v_fmac_f32_e32 v57, 0x3f167918, v60
	v_add_f32_e32 v52, v21, v20
	v_add_f32_e32 v21, v19, v12
	v_sub_f32_e32 v19, v19, v184
	v_sub_f32_e32 v12, v12, v20
	v_dual_add_f32 v20, v184, v20 :: v_dual_fmac_f32 v59, 0x3e9e377a, v17
	s_delay_alu instid0(VALU_DEP_4) | instskip(NEXT) | instid1(VALU_DEP_3)
	v_fma_f32 v53, -0.5, v21, v0
	v_dual_add_f32 v21, v1, v178 :: v_dual_add_f32 v12, v19, v12
	s_delay_alu instid0(VALU_DEP_3) | instskip(NEXT) | instid1(VALU_DEP_3)
	v_fma_f32 v19, -0.5, v20, v0
	v_dual_sub_f32 v0, v9, v178 :: v_dual_fmamk_f32 v55, v54, 0x3f737871, v53
	s_delay_alu instid0(VALU_DEP_3) | instskip(SKIP_1) | instid1(VALU_DEP_4)
	v_add_f32_e32 v21, v21, v9
	v_add_f32_e32 v9, v24, v11
	v_fmamk_f32 v20, v56, 0xbf737871, v19
	v_fmac_f32_e32 v19, 0x3f737871, v56
	v_sub_f32_e32 v11, v23, v11
	v_dual_add_f32 v21, v21, v6 :: v_dual_sub_f32 v6, v6, v7
	s_delay_alu instid0(VALU_DEP_4) | instskip(NEXT) | instid1(VALU_DEP_4)
	v_fmac_f32_e32 v20, 0x3f167918, v54
	v_dual_fmac_f32 v19, 0xbf167918, v54 :: v_dual_fmac_f32 v44, -0.5, v9
	s_delay_alu instid0(VALU_DEP_3) | instskip(NEXT) | instid1(VALU_DEP_3)
	v_add_f32_e32 v61, v21, v7
	v_dual_add_f32 v7, v178, v7 :: v_dual_fmac_f32 v20, 0x3e9e377a, v12
	s_delay_alu instid0(VALU_DEP_3) | instskip(SKIP_1) | instid1(VALU_DEP_3)
	v_dual_fmac_f32 v19, 0x3e9e377a, v12 :: v_dual_add_f32 v0, v0, v6
	v_sub_f32_e32 v6, v13, v24
	v_fma_f32 v12, -0.5, v7, v1
	v_add_f32_e32 v1, v10, v214
	v_fmac_f32_e32 v53, 0xbf737871, v54
	v_fmac_f32_e32 v57, 0x3e9e377a, v17
	v_mul_f32_e32 v17, 0xbf4f1bbd, v45
	v_fmamk_f32 v13, v60, 0x3f737871, v12
	v_fmac_f32_e32 v12, 0xbf737871, v60
	v_dual_fmac_f32 v30, -0.5, v1 :: v_dual_sub_f32 v1, v4, v10
	v_sub_f32_e32 v4, v14, v214
	s_delay_alu instid0(VALU_DEP_4) | instskip(NEXT) | instid1(VALU_DEP_4)
	v_fmac_f32_e32 v13, 0xbf167918, v58
	v_fmac_f32_e32 v12, 0x3f167918, v58
	;; [unrolled: 1-line block ×3, first 2 shown]
	v_mul_f32_e32 v14, 0xbf4f1bbd, v31
	v_fmac_f32_e32 v55, 0x3f167918, v56
	v_fmac_f32_e32 v13, 0x3e9e377a, v0
	;; [unrolled: 1-line block ×3, first 2 shown]
	v_add_f32_e32 v0, v6, v11
	v_fmamk_f32 v6, v49, 0xbf737871, v44
	v_fmac_f32_e32 v44, 0x3f737871, v49
	v_fmac_f32_e32 v53, 0x3e9e377a, v33
	;; [unrolled: 1-line block ×7, first 2 shown]
	v_dual_add_f32 v21, v52, v62 :: v_dual_add_f32 v22, v61, v63
	s_delay_alu instid0(VALU_DEP_4) | instskip(NEXT) | instid1(VALU_DEP_4)
	v_fmac_f32_e32 v6, 0x3e9e377a, v0
	v_fmac_f32_e32 v44, 0x3e9e377a, v0
	v_dual_add_f32 v0, v1, v4 :: v_dual_fmamk_f32 v1, v47, 0x3f737871, v30
	s_delay_alu instid0(VALU_DEP_3) | instskip(NEXT) | instid1(VALU_DEP_3)
	v_dual_fmac_f32 v30, 0xbf737871, v47 :: v_dual_mul_f32 v9, 0xbf737871, v6
	v_mul_f32_e32 v10, 0xbe9e377a, v44
	v_add_f32_e32 v26, v55, v50
	s_delay_alu instid0(VALU_DEP_4) | instskip(NEXT) | instid1(VALU_DEP_4)
	v_fmac_f32_e32 v1, 0xbf167918, v46
	v_dual_fmac_f32 v30, 0x3f167918, v46 :: v_dual_add_f32 v27, v59, v51
	v_sub_f32_e32 v31, v177, v188
	s_delay_alu instid0(VALU_DEP_3) | instskip(NEXT) | instid1(VALU_DEP_3)
	v_fmac_f32_e32 v1, 0x3e9e377a, v0
	v_fmac_f32_e32 v30, 0x3e9e377a, v0
	ds_store_2addr_b64 v65, v[21:22], v[26:27] offset1:75
	v_sub_f32_e32 v27, v180, v185
	v_mul_f32_e32 v4, 0x3f737871, v1
	v_mul_f32_e32 v11, 0xbe9e377a, v30
	v_fmac_f32_e32 v9, 0x3e9e377a, v1
	v_fmac_f32_e32 v10, 0x3f737871, v30
	s_delay_alu instid0(VALU_DEP_4) | instskip(NEXT) | instid1(VALU_DEP_4)
	v_fmac_f32_e32 v4, 0x3e9e377a, v6
	v_fmac_f32_e32 v11, 0xbf737871, v44
	s_delay_alu instid0(VALU_DEP_3) | instskip(NEXT) | instid1(VALU_DEP_3)
	v_dual_add_f32 v1, v13, v9 :: v_dual_add_f32 v6, v19, v10
	v_add_f32_e32 v0, v20, v4
	s_delay_alu instid0(VALU_DEP_3)
	v_add_f32_e32 v7, v12, v11
	ds_store_2addr_b64 v65, v[0:1], v[6:7] offset0:150 offset1:225
	v_dual_sub_f32 v0, v52, v62 :: v_dual_sub_f32 v1, v61, v63
	v_add_f32_e32 v6, v53, v14
	v_add_f32_e32 v7, v57, v17
	ds_store_2addr_b64 v18, v[6:7], v[0:1] offset0:44 offset1:119
	v_sub_f32_e32 v0, v55, v50
	v_dual_sub_f32 v1, v59, v51 :: v_dual_sub_f32 v6, v20, v4
	v_sub_f32_e32 v7, v13, v9
	v_add_nc_u32_e32 v4, 0xc00, v65
	s_clause 0x1
	scratch_store_b32 off, v18, off offset:316
	scratch_store_b32 off, v65, off offset:420
	v_sub_f32_e32 v20, v191, v5
	v_sub_f32_e32 v18, v255, v16
	scratch_store_b32 off, v4, off offset:320 ; 4-byte Folded Spill
	ds_store_2addr_b64 v4, v[0:1], v[6:7] offset0:66 offset1:141
	v_dual_sub_f32 v0, v19, v10 :: v_dual_sub_f32 v1, v12, v11
	v_sub_f32_e32 v6, v53, v14
	v_sub_f32_e32 v7, v57, v17
	v_dual_sub_f32 v19, v189, v8 :: v_dual_add_nc_u32 v4, 0x1000, v65
	v_sub_f32_e32 v17, v190, v15
	ds_store_2addr_b64 v4, v[0:1], v[6:7] offset0:88 offset1:163
	v_sub_f32_e32 v0, v177, v182
	v_sub_f32_e32 v1, v188, v186
	v_add_f32_e32 v6, v180, v185
	s_delay_alu instid0(VALU_DEP_2) | instskip(SKIP_1) | instid1(VALU_DEP_3)
	v_add_f32_e32 v9, v0, v1
	v_dual_sub_f32 v0, v176, v180 :: v_dual_sub_f32 v1, v187, v185
	v_fma_f32 v30, -0.5, v6, v3
	s_delay_alu instid0(VALU_DEP_2) | instskip(SKIP_1) | instid1(VALU_DEP_3)
	v_add_f32_e32 v10, v0, v1
	v_dual_sub_f32 v0, v190, v255 :: v_dual_sub_f32 v1, v15, v16
	v_fmamk_f32 v33, v31, 0xbf737871, v30
	s_delay_alu instid0(VALU_DEP_2) | instskip(SKIP_1) | instid1(VALU_DEP_1)
	v_dual_fmac_f32 v30, 0x3f737871, v31 :: v_dual_add_f32 v11, v0, v1
	v_dual_sub_f32 v0, v189, v191 :: v_dual_sub_f32 v1, v8, v5
	v_add_f32_e32 v12, v0, v1
	v_add_f32_e32 v0, v255, v16
	s_delay_alu instid0(VALU_DEP_1) | instskip(SKIP_1) | instid1(VALU_DEP_2)
	v_fma_f32 v13, -0.5, v0, v179
	v_add_f32_e32 v0, v191, v5
	v_fmamk_f32 v1, v19, 0x3f737871, v13
	s_delay_alu instid0(VALU_DEP_2) | instskip(SKIP_1) | instid1(VALU_DEP_3)
	v_fma_f32 v14, -0.5, v0, v183
	v_fmac_f32_e32 v13, 0xbf737871, v19
	v_fmac_f32_e32 v1, 0x3f167918, v20
	s_delay_alu instid0(VALU_DEP_3) | instskip(NEXT) | instid1(VALU_DEP_3)
	v_fmamk_f32 v0, v17, 0xbf737871, v14
	v_fmac_f32_e32 v13, 0xbf167918, v20
	v_fmac_f32_e32 v14, 0x3f737871, v17
	s_delay_alu instid0(VALU_DEP_4) | instskip(NEXT) | instid1(VALU_DEP_4)
	v_fmac_f32_e32 v1, 0x3e9e377a, v11
	v_fmac_f32_e32 v0, 0xbf167918, v18
	s_delay_alu instid0(VALU_DEP_4) | instskip(NEXT) | instid1(VALU_DEP_4)
	;; [unrolled: 3-line block ×3, first 2 shown]
	v_mul_f32_e32 v22, 0xbf167918, v1
	v_fmac_f32_e32 v0, 0x3e9e377a, v12
	s_delay_alu instid0(VALU_DEP_3) | instskip(NEXT) | instid1(VALU_DEP_2)
	v_fmac_f32_e32 v14, 0x3e9e377a, v12
	v_mul_f32_e32 v21, 0x3f167918, v0
	s_delay_alu instid0(VALU_DEP_4) | instskip(SKIP_1) | instid1(VALU_DEP_3)
	v_fmac_f32_e32 v22, 0x3f4f1bbd, v0
	v_and_b32_e32 v0, 0xffff, v166
	v_fmac_f32_e32 v21, 0x3f4f1bbd, v1
	v_add_f32_e32 v1, v179, v190
	s_delay_alu instid0(VALU_DEP_3) | instskip(NEXT) | instid1(VALU_DEP_2)
	v_mul_u32_u24_e32 v0, 0x2ee, v0
	v_add_f32_e32 v1, v1, v255
	s_delay_alu instid0(VALU_DEP_2) | instskip(SKIP_2) | instid1(VALU_DEP_3)
	v_add_lshl_u32 v47, v0, v35, 3
	v_add_f32_e32 v0, v2, v177
	v_sub_f32_e32 v35, v182, v186
	v_dual_add_f32 v1, v1, v16 :: v_dual_mov_b32 v48, v47
	s_delay_alu instid0(VALU_DEP_2) | instskip(SKIP_1) | instid1(VALU_DEP_3)
	v_dual_add_f32 v0, v0, v182 :: v_dual_fmac_f32 v33, 0xbf167918, v35
	v_fmac_f32_e32 v30, 0x3f167918, v35
	v_add_f32_e32 v45, v1, v15
	s_delay_alu instid0(VALU_DEP_3) | instskip(SKIP_4) | instid1(VALU_DEP_3)
	v_dual_add_f32 v0, v0, v186 :: v_dual_add_nc_u32 v11, 0x800, v48
	scratch_store_b32 off, v4, off offset:324 ; 4-byte Folded Spill
	v_dual_add_f32 v4, v183, v189 :: v_dual_fmac_f32 v33, 0x3e9e377a, v10
	v_dual_fmac_f32 v30, 0x3e9e377a, v10 :: v_dual_add_f32 v23, v0, v188
	v_add_f32_e32 v0, v182, v186
	v_dual_add_f32 v4, v4, v191 :: v_dual_add_f32 v7, v33, v22
	v_mul_f32_e32 v10, 0xbf4f1bbd, v14
	s_delay_alu instid0(VALU_DEP_3) | instskip(SKIP_1) | instid1(VALU_DEP_4)
	v_fma_f32 v24, -0.5, v0, v2
	v_add_f32_e32 v0, v3, v176
	v_add_f32_e32 v4, v4, v5
	s_delay_alu instid0(VALU_DEP_4) | instskip(NEXT) | instid1(VALU_DEP_4)
	v_fmac_f32_e32 v10, 0xbf167918, v13
	v_fmamk_f32 v26, v25, 0x3f737871, v24
	s_delay_alu instid0(VALU_DEP_4) | instskip(NEXT) | instid1(VALU_DEP_4)
	v_add_f32_e32 v0, v0, v180
	v_add_f32_e32 v46, v4, v8
	;; [unrolled: 1-line block ×3, first 2 shown]
	v_fmac_f32_e32 v24, 0xbf737871, v25
	v_fmac_f32_e32 v26, 0x3f167918, v27
	v_add_f32_e32 v0, v0, v185
	s_delay_alu instid0(VALU_DEP_4) | instskip(SKIP_1) | instid1(VALU_DEP_4)
	v_fma_f32 v2, -0.5, v4, v2
	v_add_f32_e32 v4, v190, v15
	v_fmac_f32_e32 v26, 0x3e9e377a, v9
	s_delay_alu instid0(VALU_DEP_4) | instskip(SKIP_1) | instid1(VALU_DEP_4)
	v_add_f32_e32 v44, v0, v187
	v_add_f32_e32 v0, v23, v45
	v_dual_fmac_f32 v24, 0xbf167918, v27 :: v_dual_fmac_f32 v179, -0.5, v4
	s_delay_alu instid0(VALU_DEP_3) | instskip(SKIP_1) | instid1(VALU_DEP_3)
	v_dual_add_f32 v6, v26, v21 :: v_dual_add_f32 v1, v44, v46
	v_sub_f32_e32 v4, v5, v8
	v_fmac_f32_e32 v24, 0x3e9e377a, v9
	s_delay_alu instid0(VALU_DEP_4)
	v_fmamk_f32 v5, v20, 0xbf737871, v179
	v_fmac_f32_e32 v179, 0x3f737871, v20
	ds_store_2addr_b64 v47, v[0:1], v[6:7] offset1:75
	v_sub_f32_e32 v0, v182, v177
	v_dual_sub_f32 v1, v186, v188 :: v_dual_add_f32 v6, v176, v187
	v_fmamk_f32 v47, v27, 0xbf737871, v2
	v_fmac_f32_e32 v2, 0x3f737871, v27
	s_delay_alu instid0(VALU_DEP_3) | instskip(SKIP_1) | instid1(VALU_DEP_4)
	v_dual_sub_f32 v7, v185, v187 :: v_dual_add_f32 v0, v0, v1
	v_sub_f32_e32 v1, v180, v176
	v_fmac_f32_e32 v47, 0x3f167918, v25
	s_delay_alu instid0(VALU_DEP_4) | instskip(SKIP_2) | instid1(VALU_DEP_4)
	v_dual_fmac_f32 v2, 0xbf167918, v25 :: v_dual_fmac_f32 v3, -0.5, v6
	v_sub_f32_e32 v6, v16, v15
	v_fmac_f32_e32 v5, 0x3f167918, v19
	v_fmac_f32_e32 v47, 0x3e9e377a, v0
	s_delay_alu instid0(VALU_DEP_4)
	v_fmac_f32_e32 v2, 0x3e9e377a, v0
	v_dual_add_f32 v0, v1, v7 :: v_dual_fmamk_f32 v7, v35, 0x3f737871, v3
	v_fmac_f32_e32 v3, 0xbf737871, v35
	v_sub_f32_e32 v1, v255, v190
	v_fmac_f32_e32 v179, 0xbf167918, v19
	v_mul_f32_e32 v9, 0xbf4f1bbd, v13
	v_fmac_f32_e32 v7, 0xbf167918, v31
	v_fmac_f32_e32 v3, 0x3f167918, v31
	v_sub_f32_e32 v13, v40, v163
	s_delay_alu instid0(VALU_DEP_4) | instskip(NEXT) | instid1(VALU_DEP_4)
	v_dual_sub_f32 v12, v36, v171 :: v_dual_fmac_f32 v9, 0x3f167918, v14
	v_fmac_f32_e32 v7, 0x3e9e377a, v0
	s_delay_alu instid0(VALU_DEP_4) | instskip(SKIP_1) | instid1(VALU_DEP_2)
	v_dual_fmac_f32 v3, 0x3e9e377a, v0 :: v_dual_add_f32 v0, v1, v6
	v_add_f32_e32 v1, v189, v8
	v_fmac_f32_e32 v5, 0x3e9e377a, v0
	s_delay_alu instid0(VALU_DEP_2) | instskip(SKIP_2) | instid1(VALU_DEP_4)
	v_fmac_f32_e32 v183, -0.5, v1
	v_sub_f32_e32 v1, v191, v189
	v_fmac_f32_e32 v179, 0x3e9e377a, v0
	v_mul_f32_e32 v8, 0xbf737871, v5
	s_delay_alu instid0(VALU_DEP_3) | instskip(SKIP_1) | instid1(VALU_DEP_4)
	v_dual_add_f32 v0, v1, v4 :: v_dual_fmamk_f32 v1, v18, 0x3f737871, v183
	v_fmac_f32_e32 v183, 0xbf737871, v18
	v_mul_f32_e32 v15, 0xbe9e377a, v179
	s_delay_alu instid0(VALU_DEP_3) | instskip(NEXT) | instid1(VALU_DEP_3)
	v_fmac_f32_e32 v1, 0xbf167918, v17
	v_fmac_f32_e32 v183, 0x3f167918, v17
	s_delay_alu instid0(VALU_DEP_2) | instskip(NEXT) | instid1(VALU_DEP_2)
	v_fmac_f32_e32 v1, 0x3e9e377a, v0
	v_fmac_f32_e32 v183, 0x3e9e377a, v0
	s_delay_alu instid0(VALU_DEP_2) | instskip(NEXT) | instid1(VALU_DEP_2)
	v_mul_f32_e32 v6, 0x3f737871, v1
	v_mul_f32_e32 v16, 0xbe9e377a, v183
	v_fmac_f32_e32 v8, 0x3e9e377a, v1
	v_fmac_f32_e32 v15, 0x3f737871, v183
	s_delay_alu instid0(VALU_DEP_4) | instskip(NEXT) | instid1(VALU_DEP_3)
	v_fmac_f32_e32 v6, 0x3e9e377a, v5
	v_dual_fmac_f32 v16, 0xbf737871, v179 :: v_dual_add_f32 v1, v7, v8
	s_delay_alu instid0(VALU_DEP_3) | instskip(NEXT) | instid1(VALU_DEP_3)
	v_add_f32_e32 v4, v2, v15
	v_add_f32_e32 v0, v47, v6
	s_delay_alu instid0(VALU_DEP_3)
	v_add_f32_e32 v5, v3, v16
	ds_store_2addr_b64 v48, v[0:1], v[4:5] offset0:150 offset1:225
	v_dual_sub_f32 v0, v23, v45 :: v_dual_sub_f32 v1, v44, v46
	v_dual_add_f32 v4, v24, v9 :: v_dual_add_f32 v5, v30, v10
	ds_store_2addr_b64 v11, v[4:5], v[0:1] offset0:44 offset1:119
	v_dual_sub_f32 v0, v26, v21 :: v_dual_sub_f32 v1, v33, v22
	v_sub_f32_e32 v4, v47, v6
	v_sub_f32_e32 v5, v7, v8
	v_add_nc_u32_e32 v6, 0xc00, v48
	scratch_store_b32 off, v11, off offset:328 ; 4-byte Folded Spill
	v_dual_sub_f32 v11, v41, v165 :: v_dual_sub_f32 v22, v39, v175
	ds_store_2addr_b64 v6, v[0:1], v[4:5] offset0:66 offset1:141
	v_dual_sub_f32 v1, v3, v16 :: v_dual_sub_f32 v0, v2, v15
	v_dual_sub_f32 v2, v24, v9 :: v_dual_sub_f32 v3, v30, v10
	v_add_nc_u32_e32 v4, 0x1000, v48
	s_clause 0x1
	scratch_store_b32 off, v6, off offset:332
	scratch_store_b32 off, v48, off offset:424
	v_sub_f32_e32 v10, v37, v173
	v_sub_f32_e32 v24, v162, v170
	ds_store_2addr_b64 v4, v[0:1], v[2:3] offset0:88 offset1:163
	v_sub_f32_e32 v0, v39, v162
	v_sub_f32_e32 v1, v175, v170
	scratch_store_b32 off, v4, off offset:336 ; 4-byte Folded Spill
	v_add_f32_e32 v3, v34, v36
	v_sub_f32_e32 v18, v38, v174
	v_add_f32_e32 v2, v32, v37
	v_add_f32_e32 v4, v0, v1
	v_sub_f32_e32 v0, v38, v42
	v_sub_f32_e32 v1, v174, v169
	s_delay_alu instid0(VALU_DEP_4) | instskip(NEXT) | instid1(VALU_DEP_2)
	v_add_f32_e32 v2, v2, v41
	v_add_f32_e32 v5, v0, v1
	v_sub_f32_e32 v0, v37, v41
	v_sub_f32_e32 v1, v173, v165
	s_delay_alu instid0(VALU_DEP_4) | instskip(NEXT) | instid1(VALU_DEP_2)
	v_add_f32_e32 v2, v2, v165
	v_add_f32_e32 v6, v0, v1
	v_dual_sub_f32 v0, v36, v40 :: v_dual_sub_f32 v1, v171, v163
	s_delay_alu instid0(VALU_DEP_3) | instskip(NEXT) | instid1(VALU_DEP_2)
	v_add_f32_e32 v26, v2, v173
	v_add_f32_e32 v7, v0, v1
	;; [unrolled: 1-line block ×4, first 2 shown]
	v_sub_f32_e32 v20, v42, v169
	s_delay_alu instid0(VALU_DEP_3) | instskip(NEXT) | instid1(VALU_DEP_3)
	v_fma_f32 v8, -0.5, v0, v32
	v_fma_f32 v21, -0.5, v21, v29
	s_delay_alu instid0(VALU_DEP_2) | instskip(NEXT) | instid1(VALU_DEP_2)
	v_fmamk_f32 v1, v12, 0x3f737871, v8
	v_dual_fmamk_f32 v23, v22, 0xbf737871, v21 :: v_dual_fmac_f32 v8, 0xbf737871, v12
	v_fmac_f32_e32 v21, 0x3f737871, v22
	s_delay_alu instid0(VALU_DEP_3) | instskip(SKIP_1) | instid1(VALU_DEP_4)
	v_dual_fmac_f32 v1, 0x3f167918, v13 :: v_dual_add_f32 v0, v40, v163
	v_add_f32_e32 v3, v3, v40
	v_dual_fmac_f32 v23, 0xbf167918, v24 :: v_dual_fmac_f32 v8, 0xbf167918, v13
	s_delay_alu instid0(VALU_DEP_3) | instskip(NEXT) | instid1(VALU_DEP_4)
	v_fmac_f32_e32 v1, 0x3e9e377a, v6
	v_fma_f32 v9, -0.5, v0, v34
	s_delay_alu instid0(VALU_DEP_4) | instskip(NEXT) | instid1(VALU_DEP_4)
	v_add_f32_e32 v3, v3, v163
	v_fmac_f32_e32 v23, 0x3e9e377a, v5
	v_fmac_f32_e32 v21, 0x3f167918, v24
	v_mul_f32_e32 v15, 0xbf167918, v1
	s_delay_alu instid0(VALU_DEP_4) | instskip(SKIP_1) | instid1(VALU_DEP_4)
	v_dual_fmamk_f32 v0, v10, 0xbf737871, v9 :: v_dual_add_f32 v27, v3, v171
	v_fmac_f32_e32 v9, 0x3f737871, v10
	v_dual_fmac_f32 v8, 0x3e9e377a, v6 :: v_dual_fmac_f32 v21, 0x3e9e377a, v5
	s_delay_alu instid0(VALU_DEP_3) | instskip(NEXT) | instid1(VALU_DEP_3)
	v_fmac_f32_e32 v0, 0xbf167918, v11
	v_fmac_f32_e32 v9, 0x3f167918, v11
	s_delay_alu instid0(VALU_DEP_2) | instskip(NEXT) | instid1(VALU_DEP_2)
	v_fmac_f32_e32 v0, 0x3e9e377a, v7
	v_fmac_f32_e32 v9, 0x3e9e377a, v7
	s_delay_alu instid0(VALU_DEP_2) | instskip(SKIP_2) | instid1(VALU_DEP_4)
	v_mul_f32_e32 v14, 0x3f167918, v0
	v_fmac_f32_e32 v15, 0x3f4f1bbd, v0
	v_mad_u16 v0, 0x2ee, v43, v164
	v_mul_f32_e32 v5, 0xbf4f1bbd, v9
	s_delay_alu instid0(VALU_DEP_4) | instskip(NEXT) | instid1(VALU_DEP_3)
	v_dual_fmac_f32 v14, 0x3f4f1bbd, v1 :: v_dual_add_f32 v1, v28, v39
	v_dual_add_f32 v3, v23, v15 :: v_dual_and_b32 v30, 0xffff, v0
	s_delay_alu instid0(VALU_DEP_3) | instskip(NEXT) | instid1(VALU_DEP_3)
	v_fmac_f32_e32 v5, 0xbf167918, v8
	v_add_f32_e32 v1, v1, v162
	s_delay_alu instid0(VALU_DEP_3) | instskip(SKIP_1) | instid1(VALU_DEP_2)
	v_lshlrev_b32_e32 v255, 3, v30
	v_sub_f32_e32 v30, v169, v174
	v_dual_add_f32 v1, v1, v170 :: v_dual_add_nc_u32 v6, 0x800, v255
	s_delay_alu instid0(VALU_DEP_1) | instskip(SKIP_4) | instid1(VALU_DEP_2)
	v_dual_add_f32 v16, v1, v175 :: v_dual_add_f32 v1, v162, v170
	scratch_store_b32 off, v6, off offset:340 ; 4-byte Folded Spill
	v_add_f32_e32 v0, v16, v26
	v_fma_f32 v17, -0.5, v1, v28
	v_add_f32_e32 v1, v29, v38
	v_fmamk_f32 v19, v18, 0x3f737871, v17
	s_delay_alu instid0(VALU_DEP_2) | instskip(SKIP_1) | instid1(VALU_DEP_3)
	v_add_f32_e32 v1, v1, v42
	v_fmac_f32_e32 v17, 0xbf737871, v18
	v_fmac_f32_e32 v19, 0x3f167918, v20
	s_delay_alu instid0(VALU_DEP_3) | instskip(NEXT) | instid1(VALU_DEP_3)
	v_add_f32_e32 v1, v1, v169
	v_fmac_f32_e32 v17, 0xbf167918, v20
	s_delay_alu instid0(VALU_DEP_3) | instskip(NEXT) | instid1(VALU_DEP_3)
	v_fmac_f32_e32 v19, 0x3e9e377a, v4
	v_add_f32_e32 v25, v1, v174
	s_delay_alu instid0(VALU_DEP_3) | instskip(SKIP_1) | instid1(VALU_DEP_3)
	v_fmac_f32_e32 v17, 0x3e9e377a, v4
	v_mul_f32_e32 v4, 0xbf4f1bbd, v8
	v_dual_add_f32 v2, v19, v14 :: v_dual_add_f32 v1, v25, v27
	s_delay_alu instid0(VALU_DEP_2)
	v_fmac_f32_e32 v4, 0x3f167918, v9
	ds_store_2addr_b64 v255, v[0:1], v[2:3] offset1:75
	v_add_f32_e32 v2, v39, v175
	v_sub_f32_e32 v0, v162, v39
	v_sub_f32_e32 v1, v170, v175
	v_add_f32_e32 v3, v38, v174
	s_delay_alu instid0(VALU_DEP_4) | instskip(SKIP_1) | instid1(VALU_DEP_4)
	v_fma_f32 v28, -0.5, v2, v28
	v_add_f32_e32 v2, v37, v173
	v_dual_add_f32 v0, v0, v1 :: v_dual_sub_f32 v1, v42, v38
	s_delay_alu instid0(VALU_DEP_4) | instskip(NEXT) | instid1(VALU_DEP_4)
	v_fmac_f32_e32 v29, -0.5, v3
	v_fmamk_f32 v31, v20, 0xbf737871, v28
	v_dual_fmac_f32 v28, 0x3f737871, v20 :: v_dual_sub_f32 v3, v165, v173
	v_fmac_f32_e32 v32, -0.5, v2
	s_delay_alu instid0(VALU_DEP_3) | instskip(NEXT) | instid1(VALU_DEP_3)
	v_dual_sub_f32 v2, v163, v171 :: v_dual_fmac_f32 v31, 0x3f167918, v18
	v_fmac_f32_e32 v28, 0xbf167918, v18
	s_delay_alu instid0(VALU_DEP_2) | instskip(NEXT) | instid1(VALU_DEP_2)
	v_fmac_f32_e32 v31, 0x3e9e377a, v0
	v_fmac_f32_e32 v28, 0x3e9e377a, v0
	v_add_f32_e32 v0, v1, v30
	v_fmamk_f32 v30, v24, 0x3f737871, v29
	v_fmac_f32_e32 v29, 0xbf737871, v24
	s_delay_alu instid0(VALU_DEP_2) | instskip(NEXT) | instid1(VALU_DEP_2)
	v_dual_sub_f32 v1, v41, v37 :: v_dual_fmac_f32 v30, 0xbf167918, v22
	v_fmac_f32_e32 v29, 0x3f167918, v22
	s_delay_alu instid0(VALU_DEP_2) | instskip(NEXT) | instid1(VALU_DEP_2)
	v_fmac_f32_e32 v30, 0x3e9e377a, v0
	v_dual_fmac_f32 v29, 0x3e9e377a, v0 :: v_dual_add_f32 v0, v1, v3
	v_add_f32_e32 v1, v36, v171
	v_fmamk_f32 v3, v13, 0xbf737871, v32
	v_fmac_f32_e32 v32, 0x3f737871, v13
	s_delay_alu instid0(VALU_DEP_3) | instskip(NEXT) | instid1(VALU_DEP_3)
	v_dual_fmac_f32 v34, -0.5, v1 :: v_dual_sub_f32 v1, v40, v36
	v_fmac_f32_e32 v3, 0x3f167918, v12
	s_delay_alu instid0(VALU_DEP_3) | instskip(NEXT) | instid1(VALU_DEP_2)
	v_fmac_f32_e32 v32, 0xbf167918, v12
	v_fmac_f32_e32 v3, 0x3e9e377a, v0
	s_delay_alu instid0(VALU_DEP_2) | instskip(SKIP_2) | instid1(VALU_DEP_4)
	v_fmac_f32_e32 v32, 0x3e9e377a, v0
	v_dual_add_f32 v0, v1, v2 :: v_dual_fmamk_f32 v1, v11, 0x3f737871, v34
	v_fmac_f32_e32 v34, 0xbf737871, v11
	v_mul_f32_e32 v35, 0xbf737871, v3
	s_delay_alu instid0(VALU_DEP_4) | instskip(NEXT) | instid1(VALU_DEP_4)
	v_mul_f32_e32 v36, 0xbe9e377a, v32
	v_fmac_f32_e32 v1, 0xbf167918, v10
	s_delay_alu instid0(VALU_DEP_4) | instskip(NEXT) | instid1(VALU_DEP_2)
	v_fmac_f32_e32 v34, 0x3f167918, v10
	v_fmac_f32_e32 v1, 0x3e9e377a, v0
	s_delay_alu instid0(VALU_DEP_2) | instskip(NEXT) | instid1(VALU_DEP_1)
	v_fmac_f32_e32 v34, 0x3e9e377a, v0
	v_dual_mul_f32 v33, 0x3f737871, v1 :: v_dual_fmac_f32 v36, 0x3f737871, v34
	v_mul_f32_e32 v34, 0xbe9e377a, v34
	v_fmac_f32_e32 v35, 0x3e9e377a, v1
	s_delay_alu instid0(VALU_DEP_3) | instskip(NEXT) | instid1(VALU_DEP_2)
	v_dual_fmac_f32 v33, 0x3e9e377a, v3 :: v_dual_add_f32 v2, v28, v36
	v_dual_fmac_f32 v34, 0xbf737871, v32 :: v_dual_add_f32 v1, v30, v35
	s_delay_alu instid0(VALU_DEP_1)
	v_dual_add_f32 v0, v31, v33 :: v_dual_add_f32 v3, v29, v34
	ds_store_2addr_b64 v255, v[0:1], v[2:3] offset0:150 offset1:225
	v_dual_sub_f32 v0, v16, v26 :: v_dual_sub_f32 v1, v25, v27
	v_add_f32_e32 v2, v17, v4
	v_add_f32_e32 v3, v21, v5
	ds_store_2addr_b64 v6, v[2:3], v[0:1] offset0:44 offset1:119
	v_sub_f32_e32 v0, v19, v14
	v_sub_f32_e32 v1, v23, v15
	v_dual_sub_f32 v2, v31, v33 :: v_dual_sub_f32 v3, v30, v35
	v_add_nc_u32_e32 v6, 0xc00, v255
	ds_store_2addr_b64 v6, v[0:1], v[2:3] offset0:66 offset1:141
	v_dual_sub_f32 v1, v29, v34 :: v_dual_sub_f32 v0, v28, v36
	v_sub_f32_e32 v2, v17, v4
	v_dual_sub_f32 v3, v21, v5 :: v_dual_add_nc_u32 v4, 0x1000, v255
	s_clause 0x1
	scratch_store_b32 off, v6, off offset:344
	scratch_store_b32 off, v4, off offset:348
	ds_store_2addr_b64 v4, v[0:1], v[2:3] offset0:88 offset1:163
	v_lshlrev_b32_e32 v0, 5, v64
	global_wb scope:SCOPE_SE
	s_wait_storecnt_dscnt 0x0
	s_barrier_signal -1
	s_barrier_wait -1
	global_inv scope:SCOPE_SE
	s_clause 0x1
	global_load_b128 v[31:34], v0, s[10:11] offset:5976
	global_load_b128 v[27:30], v0, s[10:11] offset:5992
	ds_load_2addr_b64 v[0:3], v86 offset0:110 offset1:235
	ds_load_2addr_b64 v[162:165], v196 offset1:125
	s_wait_loadcnt_dscnt 0x101
	v_mul_f32_e32 v4, v1, v32
	v_mul_f32_e32 v9, v0, v32
	scratch_store_b128 off, v[31:34], off offset:404 ; 16-byte Folded Spill
	v_fma_f32 v8, v0, v31, -v4
	v_dual_fmac_f32 v9, v1, v31 :: v_dual_lshlrev_b32 v4, 5, v161
	s_clause 0x1
	global_load_b128 v[13:16], v4, s[10:11] offset:5976
	global_load_b128 v[17:20], v4, s[10:11] offset:5992
	s_wait_loadcnt 0x2
	scratch_store_b128 off, v[27:30], off offset:368 ; 16-byte Folded Spill
	s_wait_loadcnt 0x1
	v_mul_f32_e32 v0, v3, v14
	v_mul_f32_e32 v43, v2, v14
	scratch_store_b128 off, v[13:16], off offset:384 ; 16-byte Folded Spill
	s_wait_loadcnt 0x0
	scratch_store_b128 off, v[17:20], off offset:352 ; 16-byte Folded Spill
	v_fma_f32 v214, v2, v13, -v0
	v_fmac_f32_e32 v43, v3, v13
	ds_load_2addr_b64 v[11:14], v79 offset0:92 offset1:217
	s_wait_dscnt 0x0
	v_dual_mul_f32 v0, v12, v34 :: v_dual_mul_f32 v7, v13, v16
	s_delay_alu instid0(VALU_DEP_1) | instskip(SKIP_1) | instid1(VALU_DEP_3)
	v_fma_f32 v10, v11, v33, -v0
	v_mul_f32_e32 v0, v14, v16
	v_fmac_f32_e32 v7, v14, v15
	v_mul_f32_e32 v11, v11, v34
	s_delay_alu instid0(VALU_DEP_3) | instskip(SKIP_4) | instid1(VALU_DEP_2)
	v_fma_f32 v68, v13, v15, -v0
	ds_load_2addr_b64 v[13:16], v197 offset0:74 offset1:199
	s_wait_dscnt 0x0
	v_dual_fmac_f32 v11, v12, v33 :: v_dual_mul_f32 v0, v14, v28
	v_mul_f32_e32 v5, v15, v18
	v_fma_f32 v12, v13, v27, -v0
	v_mul_f32_e32 v0, v16, v18
	s_delay_alu instid0(VALU_DEP_3) | instskip(SKIP_1) | instid1(VALU_DEP_4)
	v_fmac_f32_e32 v5, v16, v17
	v_mul_f32_e32 v13, v13, v28
	v_sub_f32_e32 v44, v10, v12
	s_delay_alu instid0(VALU_DEP_4) | instskip(SKIP_3) | instid1(VALU_DEP_2)
	v_fma_f32 v64, v15, v17, -v0
	ds_load_2addr_b64 v[15:18], v84 offset0:56 offset1:181
	v_fmac_f32_e32 v13, v14, v27
	v_dual_sub_f32 v55, v7, v5 :: v_dual_add_nc_u32 v0, 0x4800, v196
	v_dual_sub_f32 v57, v68, v64 :: v_dual_sub_f32 v24, v11, v13
	s_delay_alu instid0(VALU_DEP_2) | instskip(SKIP_2) | instid1(VALU_DEP_1)
	v_mov_b32_e32 v81, v0
	s_wait_dscnt 0x0
	v_dual_mul_f32 v1, v16, v30 :: v_dual_mul_f32 v6, v17, v20
	v_fma_f32 v14, v15, v29, -v1
	v_mul_f32_e32 v1, v18, v20
	s_delay_alu instid0(VALU_DEP_3) | instskip(NEXT) | instid1(VALU_DEP_3)
	v_dual_mul_f32 v15, v15, v30 :: v_dual_fmac_f32 v6, v18, v19
	v_sub_f32_e32 v2, v14, v12
	s_delay_alu instid0(VALU_DEP_3) | instskip(SKIP_1) | instid1(VALU_DEP_4)
	v_fma_f32 v22, v17, v19, -v1
	v_sub_f32_e32 v1, v8, v10
	v_fmac_f32_e32 v15, v16, v29
	v_sub_f32_e32 v26, v8, v14
	v_add_f32_e32 v4, v8, v14
	v_sub_f32_e32 v56, v43, v6
	v_dual_add_f32 v16, v1, v2 :: v_dual_add_f32 v1, v10, v12
	v_dual_add_f32 v2, v11, v13 :: v_dual_sub_f32 v25, v9, v15
	v_dual_sub_f32 v3, v13, v15 :: v_dual_sub_f32 v58, v214, v22
	s_delay_alu instid0(VALU_DEP_3) | instskip(NEXT) | instid1(VALU_DEP_3)
	v_fma_f32 v160, -0.5, v1, v162
	v_fma_f32 v161, -0.5, v2, v163
	v_dual_sub_f32 v1, v9, v11 :: v_dual_sub_f32 v2, v15, v13
	s_delay_alu instid0(VALU_DEP_3) | instskip(SKIP_1) | instid1(VALU_DEP_3)
	v_fmamk_f32 v177, v25, 0x3f737871, v160
	v_fmac_f32_e32 v160, 0xbf737871, v25
	v_dual_fmamk_f32 v178, v26, 0xbf737871, v161 :: v_dual_add_f32 v23, v1, v2
	v_dual_add_f32 v2, v163, v9 :: v_dual_add_f32 v1, v162, v8
	v_fma_f32 v162, -0.5, v4, v162
	v_fmac_f32_e32 v177, 0x3f167918, v24
	s_delay_alu instid0(VALU_DEP_3) | instskip(NEXT) | instid1(VALU_DEP_4)
	v_dual_fmac_f32 v161, 0x3f737871, v26 :: v_dual_add_f32 v2, v2, v11
	v_dual_add_f32 v1, v1, v10 :: v_dual_fmac_f32 v160, 0xbf167918, v24
	s_delay_alu instid0(VALU_DEP_4) | instskip(NEXT) | instid1(VALU_DEP_2)
	v_dual_sub_f32 v8, v10, v8 :: v_dual_fmamk_f32 v179, v24, 0xbf737871, v162
	v_dual_add_f32 v2, v2, v13 :: v_dual_add_f32 v1, v1, v12
	v_fmac_f32_e32 v178, 0xbf167918, v44
	v_fmac_f32_e32 v177, 0x3e9e377a, v16
	;; [unrolled: 1-line block ×3, first 2 shown]
	s_delay_alu instid0(VALU_DEP_4)
	v_add_f32_e32 v170, v2, v15
	v_add_f32_e32 v2, v9, v15
	;; [unrolled: 1-line block ×3, first 2 shown]
	v_sub_f32_e32 v1, v11, v9
	v_sub_f32_e32 v9, v12, v14
	v_fmac_f32_e32 v161, 0x3f167918, v44
	v_fma_f32 v163, -0.5, v2, v163
	v_fmac_f32_e32 v160, 0x3e9e377a, v16
	v_add_f32_e32 v16, v164, v214
	v_dual_add_f32 v45, v8, v9 :: v_dual_add_f32 v46, v1, v3
	s_delay_alu instid0(VALU_DEP_4)
	v_fmamk_f32 v180, v44, 0x3f737871, v163
	v_fmac_f32_e32 v163, 0xbf737871, v44
	v_fmac_f32_e32 v179, 0x3f167918, v25
	;; [unrolled: 1-line block ×6, first 2 shown]
	v_dual_fmac_f32 v161, 0x3e9e377a, v23 :: v_dual_add_f32 v16, v16, v68
	v_add_f32_e32 v23, v165, v43
	s_delay_alu instid0(VALU_DEP_4) | instskip(NEXT) | instid1(VALU_DEP_4)
	v_dual_fmac_f32 v179, 0x3e9e377a, v45 :: v_dual_fmac_f32 v180, 0x3e9e377a, v46
	v_dual_fmac_f32 v162, 0x3e9e377a, v45 :: v_dual_fmac_f32 v163, 0x3e9e377a, v46
	s_delay_alu instid0(VALU_DEP_3)
	v_dual_add_f32 v23, v23, v7 :: v_dual_add_f32 v16, v16, v64
	ds_load_2addr_b64 v[8:11], v204 offset0:122 offset1:247
	ds_load_2addr_b64 v[12:15], v85 offset0:104 offset1:229
	;; [unrolled: 1-line block ×10, first 2 shown]
	ds_store_b64 v196, v[177:178] offset:6000
	ds_store_b64 v196, v[179:180] offset:12000
	;; [unrolled: 1-line block ×4, first 2 shown]
	v_dual_add_f32 v23, v23, v5 :: v_dual_add_f32 v160, v16, v22
	v_add_f32_e32 v16, v68, v64
	v_add_f32_e32 v24, v214, v22
	v_sub_f32_e32 v25, v5, v6
	s_delay_alu instid0(VALU_DEP_4) | instskip(NEXT) | instid1(VALU_DEP_4)
	v_add_f32_e32 v161, v23, v6
	v_fma_f32 v23, -0.5, v16, v164
	s_delay_alu instid0(VALU_DEP_4)
	v_fma_f32 v164, -0.5, v24, v164
	v_sub_f32_e32 v16, v68, v214
	v_sub_f32_e32 v24, v64, v22
	ds_store_2addr_b64 v196, v[169:170], v[160:161] offset1:125
	v_add_f32_e32 v44, v16, v24
	v_add_f32_e32 v16, v7, v5
	v_sub_f32_e32 v5, v6, v5
	s_delay_alu instid0(VALU_DEP_2) | instskip(SKIP_1) | instid1(VALU_DEP_1)
	v_fma_f32 v24, -0.5, v16, v165
	v_add_f32_e32 v16, v43, v6
	v_dual_fmac_f32 v165, -0.5, v16 :: v_dual_sub_f32 v16, v7, v43
	v_sub_f32_e32 v7, v43, v7
	s_delay_alu instid0(VALU_DEP_2)
	v_dual_add_f32 v45, v16, v25 :: v_dual_lshlrev_b32 v16, 5, v168
	s_clause 0x1
	global_load_b128 v[168:171], v16, s[10:11] offset:5976
	global_load_b128 v[160:163], v16, s[10:11] offset:5992
	v_add_f32_e32 v7, v7, v5
	s_wait_loadcnt_dscnt 0x10d
	v_mul_f32_e32 v16, v13, v169
	s_wait_loadcnt_dscnt 0xa
	v_dual_mul_f32 v51, v12, v169 :: v_dual_mul_f32 v52, v173, v163
	v_mul_f32_e32 v53, v17, v171
	s_delay_alu instid0(VALU_DEP_3) | instskip(NEXT) | instid1(VALU_DEP_3)
	v_fma_f32 v46, v12, v168, -v16
	v_dual_mul_f32 v16, v18, v171 :: v_dual_fmac_f32 v51, v13, v168
	s_delay_alu instid0(VALU_DEP_4) | instskip(NEXT) | instid1(VALU_DEP_4)
	v_fmac_f32_e32 v52, v174, v162
	v_fmac_f32_e32 v53, v18, v170
	v_mul_f32_e32 v18, v182, v161
	s_delay_alu instid0(VALU_DEP_4) | instskip(SKIP_3) | instid1(VALU_DEP_4)
	v_fma_f32 v47, v17, v170, -v16
	v_mul_f32_e32 v16, v183, v161
	v_add_f32_e32 v13, v51, v52
	v_sub_f32_e32 v60, v51, v52
	v_dual_fmac_f32 v18, v183, v160 :: v_dual_sub_f32 v5, v46, v47
	s_delay_alu instid0(VALU_DEP_4) | instskip(SKIP_2) | instid1(VALU_DEP_4)
	v_fma_f32 v48, v182, v160, -v16
	v_mul_f32_e32 v16, v174, v163
	v_fma_f32 v13, -0.5, v13, v9
	v_sub_f32_e32 v17, v18, v52
	v_sub_f32_e32 v59, v53, v18
	;; [unrolled: 1-line block ×3, first 2 shown]
	v_fma_f32 v49, v173, v162, -v16
	v_sub_f32_e32 v16, v47, v46
	s_delay_alu instid0(VALU_DEP_2)
	v_dual_fmamk_f32 v26, v61, 0x3f737871, v13 :: v_dual_sub_f32 v25, v48, v49
	v_add_f32_e32 v12, v46, v49
	v_fmac_f32_e32 v13, 0xbf737871, v61
	v_sub_f32_e32 v62, v46, v49
	v_sub_f32_e32 v6, v49, v48
	v_add_f32_e32 v50, v16, v25
	v_fma_f32 v12, -0.5, v12, v8
	s_delay_alu instid0(VALU_DEP_4) | instskip(SKIP_1) | instid1(VALU_DEP_2)
	v_dual_sub_f32 v16, v53, v51 :: v_dual_fmac_f32 v13, 0x3f167918, v62
	v_fmac_f32_e32 v26, 0xbf167918, v62
	v_dual_fmamk_f32 v25, v59, 0xbf737871, v12 :: v_dual_add_f32 v54, v16, v17
	v_fmamk_f32 v16, v55, 0xbf737871, v164
	v_dual_fmac_f32 v164, 0x3f737871, v55 :: v_dual_fmamk_f32 v17, v57, 0x3f737871, v165
	v_fmac_f32_e32 v165, 0xbf737871, v57
	v_fmac_f32_e32 v12, 0x3f737871, v59
	;; [unrolled: 1-line block ×3, first 2 shown]
	s_delay_alu instid0(VALU_DEP_4) | instskip(NEXT) | instid1(VALU_DEP_4)
	v_fmac_f32_e32 v164, 0xbf167918, v56
	v_dual_fmac_f32 v16, 0x3f167918, v56 :: v_dual_fmac_f32 v165, 0x3f167918, v58
	s_delay_alu instid0(VALU_DEP_4) | instskip(NEXT) | instid1(VALU_DEP_3)
	v_dual_fmac_f32 v12, 0xbf167918, v60 :: v_dual_fmac_f32 v17, 0xbf167918, v58
	v_fmac_f32_e32 v164, 0x3e9e377a, v44
	v_fmac_f32_e32 v25, 0x3f167918, v60
	s_delay_alu instid0(VALU_DEP_3) | instskip(NEXT) | instid1(VALU_DEP_4)
	v_dual_fmac_f32 v165, 0x3e9e377a, v45 :: v_dual_fmac_f32 v12, 0x3e9e377a, v50
	v_dual_fmac_f32 v16, 0x3e9e377a, v44 :: v_dual_fmac_f32 v17, 0x3e9e377a, v45
	s_delay_alu instid0(VALU_DEP_3)
	v_fmac_f32_e32 v25, 0x3e9e377a, v50
	v_fmac_f32_e32 v26, 0x3e9e377a, v54
	ds_store_2addr_b64 v0, v[164:165], v[12:13] offset0:71 offset1:196
	v_lshlrev_b32_e32 v12, 5, v172
	s_clause 0x1
	global_load_b128 v[188:191], v12, s[10:11] offset:5976
	global_load_b128 v[180:183], v12, s[10:11] offset:5992
	v_sub_f32_e32 v13, v22, v64
	v_add_nc_u32_e32 v64, 0x1800, v196
	s_wait_loadcnt 0x1
	v_mul_f32_e32 v12, v15, v189
	s_wait_loadcnt 0x0
	v_mul_f32_e32 v0, v175, v183
	v_mul_f32_e32 v66, v184, v181
	;; [unrolled: 1-line block ×3, first 2 shown]
	v_fma_f32 v63, v14, v188, -v12
	v_mul_f32_e32 v12, v20, v191
	v_fmac_f32_e32 v0, v176, v182
	v_fmac_f32_e32 v66, v185, v180
	;; [unrolled: 1-line block ×3, first 2 shown]
	s_delay_alu instid0(VALU_DEP_4) | instskip(SKIP_1) | instid1(VALU_DEP_1)
	v_fma_f32 v65, v19, v190, -v12
	v_dual_mul_f32 v19, v19, v191 :: v_dual_mul_f32 v12, v185, v181
	v_fmac_f32_e32 v19, v20, v190
	s_delay_alu instid0(VALU_DEP_2) | instskip(SKIP_1) | instid1(VALU_DEP_1)
	v_fma_f32 v20, v184, v180, -v12
	v_mul_f32_e32 v12, v176, v183
	v_fma_f32 v67, v175, v182, -v12
	v_lshlrev_b32_e32 v12, 5, v167
	s_clause 0x1
	global_load_b128 v[176:179], v12, s[10:11] offset:5976
	global_load_b128 v[172:175], v12, s[10:11] offset:5992
	s_wait_loadcnt_dscnt 0x109
	v_mul_f32_e32 v12, v28, v177
	s_delay_alu instid0(VALU_DEP_1)
	v_fma_f32 v69, v27, v176, -v12
	v_lshlrev_b32_e32 v12, 5, v213
	s_clause 0x1
	global_load_b128 v[184:187], v12, s[10:11] offset:5976
	global_load_b128 v[164:167], v12, s[10:11] offset:5992
	v_mul_f32_e32 v27, v27, v177
	ds_store_2addr_b64 v198, v[16:17], v[25:26] offset0:89 offset1:214
	v_sub_f32_e32 v17, v63, v67
	v_sub_f32_e32 v16, v63, v65
	s_add_nc_u64 s[10:11], s[8:9], 0x7530
	s_wait_loadcnt 0x1
	v_dual_fmac_f32 v27, v28, v176 :: v_dual_mul_f32 v12, v30, v185
	s_delay_alu instid0(VALU_DEP_1) | instskip(SKIP_2) | instid1(VALU_DEP_1)
	v_fma_f32 v28, v29, v184, -v12
	s_wait_dscnt 0x9
	v_dual_mul_f32 v29, v29, v185 :: v_dual_mul_f32 v12, v32, v179
	v_fmac_f32_e32 v29, v30, v184
	s_delay_alu instid0(VALU_DEP_2) | instskip(SKIP_1) | instid1(VALU_DEP_3)
	v_fma_f32 v30, v31, v178, -v12
	v_mul_f32_e32 v31, v31, v179
	v_dual_mul_f32 v12, v34, v187 :: v_dual_add_f32 v25, v4, v29
	s_delay_alu instid0(VALU_DEP_2) | instskip(NEXT) | instid1(VALU_DEP_2)
	v_fmac_f32_e32 v31, v32, v178
	v_fma_f32 v32, v33, v186, -v12
	s_wait_dscnt 0x8
	v_dual_mul_f32 v33, v33, v187 :: v_dual_mul_f32 v12, v36, v173
	s_delay_alu instid0(VALU_DEP_1) | instskip(NEXT) | instid1(VALU_DEP_2)
	v_fmac_f32_e32 v33, v34, v186
	v_fma_f32 v34, v35, v172, -v12
	v_mul_f32_e32 v35, v35, v173
	s_wait_loadcnt 0x0
	s_delay_alu instid0(VALU_DEP_1) | instskip(NEXT) | instid1(VALU_DEP_1)
	v_dual_mul_f32 v12, v38, v165 :: v_dual_fmac_f32 v35, v36, v172
	v_fma_f32 v36, v37, v164, -v12
	s_wait_dscnt 0x7
	v_dual_mul_f32 v37, v37, v165 :: v_dual_mul_f32 v12, v40, v175
	s_delay_alu instid0(VALU_DEP_2) | instskip(NEXT) | instid1(VALU_DEP_2)
	v_sub_f32_e32 v44, v32, v36
	v_fmac_f32_e32 v37, v38, v164
	s_delay_alu instid0(VALU_DEP_3) | instskip(SKIP_1) | instid1(VALU_DEP_1)
	v_fma_f32 v38, v39, v174, -v12
	v_mul_f32_e32 v39, v39, v175
	v_dual_mul_f32 v12, v42, v167 :: v_dual_fmac_f32 v39, v40, v174
	s_delay_alu instid0(VALU_DEP_1) | instskip(SKIP_1) | instid1(VALU_DEP_2)
	v_fma_f32 v40, v41, v166, -v12
	v_dual_mul_f32 v41, v41, v167 :: v_dual_sub_f32 v12, v214, v68
	v_sub_f32_e32 v45, v28, v40
	s_delay_alu instid0(VALU_DEP_2) | instskip(SKIP_4) | instid1(VALU_DEP_4)
	v_fmac_f32_e32 v41, v42, v166
	v_dual_add_f32 v42, v5, v6 :: v_dual_add_f32 v5, v47, v48
	v_add_f32_e32 v6, v53, v18
	v_add_f32_e32 v22, v12, v13
	v_dual_sub_f32 v12, v51, v53 :: v_dual_sub_f32 v13, v52, v18
	v_fma_f32 v5, -0.5, v5, v8
	s_delay_alu instid0(VALU_DEP_4) | instskip(NEXT) | instid1(VALU_DEP_3)
	v_fma_f32 v6, -0.5, v6, v9
	v_add_f32_e32 v43, v12, v13
	v_fmamk_f32 v12, v56, 0x3f737871, v23
	v_fmamk_f32 v13, v58, 0xbf737871, v24
	;; [unrolled: 1-line block ×4, first 2 shown]
	v_fmac_f32_e32 v23, 0xbf737871, v56
	v_fmac_f32_e32 v24, 0x3f737871, v58
	;; [unrolled: 1-line block ×10, first 2 shown]
	s_delay_alu instid0(VALU_DEP_4) | instskip(NEXT) | instid1(VALU_DEP_3)
	v_dual_fmac_f32 v23, 0x3e9e377a, v22 :: v_dual_fmac_f32 v24, 0x3e9e377a, v7
	v_dual_fmac_f32 v5, 0x3e9e377a, v42 :: v_dual_fmac_f32 v6, 0x3e9e377a, v43
	v_add_f32_e32 v7, v10, v63
	v_fmac_f32_e32 v12, 0x3f167918, v55
	v_fmac_f32_e32 v14, 0x3f167918, v59
	;; [unrolled: 1-line block ×3, first 2 shown]
	ds_store_2addr_b64 v199, v[23:24], v[5:6] offset0:53 offset1:178
	v_dual_add_f32 v5, v8, v46 :: v_dual_add_f32 v6, v9, v51
	v_add_f32_e32 v8, v11, v21
	v_dual_add_f32 v7, v7, v65 :: v_dual_fmac_f32 v12, 0x3e9e377a, v22
	s_delay_alu instid0(VALU_DEP_3) | instskip(NEXT) | instid1(VALU_DEP_2)
	v_dual_add_f32 v5, v5, v47 :: v_dual_add_f32 v6, v6, v53
	v_dual_add_f32 v8, v8, v19 :: v_dual_add_f32 v7, v7, v20
	s_delay_alu instid0(VALU_DEP_2) | instskip(NEXT) | instid1(VALU_DEP_3)
	v_dual_fmac_f32 v14, 0x3e9e377a, v42 :: v_dual_add_f32 v5, v5, v48
	v_add_f32_e32 v6, v6, v18
	s_delay_alu instid0(VALU_DEP_3) | instskip(NEXT) | instid1(VALU_DEP_4)
	v_dual_add_f32 v8, v8, v66 :: v_dual_fmac_f32 v15, 0x3e9e377a, v43
	v_add_f32_e32 v7, v7, v67
	s_delay_alu instid0(VALU_DEP_3) | instskip(NEXT) | instid1(VALU_DEP_3)
	v_dual_add_f32 v5, v5, v49 :: v_dual_add_f32 v6, v6, v52
	v_add_f32_e32 v8, v8, v0
	ds_store_2addr_b64 v64, v[12:13], v[14:15] offset0:107 offset1:232
	v_dual_sub_f32 v9, v66, v0 :: v_dual_sub_f32 v14, v19, v66
	v_sub_f32_e32 v13, v21, v0
	ds_store_2addr_b64 v204, v[5:6], v[7:8] offset0:122 offset1:247
	v_dual_add_f32 v5, v65, v20 :: v_dual_add_f32 v6, v63, v67
	v_sub_f32_e32 v7, v20, v67
	v_sub_f32_e32 v15, v65, v20
	;; [unrolled: 1-line block ×3, first 2 shown]
	s_delay_alu instid0(VALU_DEP_4) | instskip(SKIP_3) | instid1(VALU_DEP_4)
	v_fma_f32 v5, -0.5, v5, v10
	v_fma_f32 v10, -0.5, v6, v10
	v_sub_f32_e32 v6, v65, v63
	v_dual_sub_f32 v20, v30, v34 :: v_dual_add_f32 v23, v3, v28
	v_fmamk_f32 v12, v13, 0x3f737871, v5
	s_delay_alu instid0(VALU_DEP_3) | instskip(SKIP_2) | instid1(VALU_DEP_3)
	v_dual_fmac_f32 v5, 0xbf737871, v13 :: v_dual_add_f32 v8, v6, v7
	v_dual_add_f32 v6, v19, v66 :: v_dual_add_f32 v7, v21, v0
	v_sub_f32_e32 v0, v0, v66
	v_fmac_f32_e32 v5, 0xbf167918, v14
	v_fmac_f32_e32 v12, 0x3f167918, v14
	s_delay_alu instid0(VALU_DEP_4)
	v_fma_f32 v6, -0.5, v6, v11
	v_fmac_f32_e32 v11, -0.5, v7
	v_sub_f32_e32 v7, v19, v21
	v_sub_f32_e32 v19, v21, v19
	;; [unrolled: 1-line block ×4, first 2 shown]
	v_mov_b32_e32 v199, v201
	v_add_f32_e32 v9, v7, v9
	v_fmamk_f32 v7, v14, 0xbf737871, v10
	v_fmac_f32_e32 v10, 0x3f737871, v14
	v_dual_add_f32 v0, v19, v0 :: v_dual_sub_f32 v19, v69, v38
	s_delay_alu instid0(VALU_DEP_3) | instskip(NEXT) | instid1(VALU_DEP_3)
	v_fmac_f32_e32 v7, 0x3f167918, v13
	v_fmac_f32_e32 v10, 0xbf167918, v13
	v_fmamk_f32 v13, v17, 0xbf737871, v6
	v_fmac_f32_e32 v6, 0x3f737871, v17
	s_delay_alu instid0(VALU_DEP_4) | instskip(NEXT) | instid1(VALU_DEP_4)
	v_fmac_f32_e32 v7, 0x3e9e377a, v8
	v_fmac_f32_e32 v10, 0x3e9e377a, v8
	v_fmamk_f32 v8, v15, 0x3f737871, v11
	v_fmac_f32_e32 v11, 0xbf737871, v15
	v_fmac_f32_e32 v6, 0x3f167918, v15
	s_delay_alu instid0(VALU_DEP_3) | instskip(NEXT) | instid1(VALU_DEP_3)
	v_dual_fmac_f32 v13, 0xbf167918, v15 :: v_dual_fmac_f32 v8, 0xbf167918, v17
	v_fmac_f32_e32 v11, 0x3f167918, v17
	s_delay_alu instid0(VALU_DEP_3) | instskip(NEXT) | instid1(VALU_DEP_3)
	v_fmac_f32_e32 v6, 0x3e9e377a, v0
	v_dual_fmac_f32 v13, 0x3e9e377a, v0 :: v_dual_sub_f32 v0, v69, v30
	s_delay_alu instid0(VALU_DEP_4) | instskip(NEXT) | instid1(VALU_DEP_4)
	v_fmac_f32_e32 v8, 0x3e9e377a, v9
	v_fmac_f32_e32 v11, 0x3e9e377a, v9
	v_add_f32_e32 v9, v16, v18
	v_sub_f32_e32 v17, v27, v39
	s_delay_alu instid0(VALU_DEP_2)
	v_dual_sub_f32 v18, v31, v35 :: v_dual_fmac_f32 v5, 0x3e9e377a, v9
	ds_store_b64 v196, v[10:11] offset:21000
	ds_store_b64 v196, v[7:8] offset:15000
	;; [unrolled: 1-line block ×3, first 2 shown]
	v_dual_sub_f32 v5, v38, v34 :: v_dual_add_f32 v6, v31, v35
	v_dual_sub_f32 v7, v39, v35 :: v_dual_fmac_f32 v12, 0x3e9e377a, v9
	v_sub_f32_e32 v9, v35, v39
	s_delay_alu instid0(VALU_DEP_3) | instskip(NEXT) | instid1(VALU_DEP_4)
	v_dual_add_f32 v15, v0, v5 :: v_dual_add_f32 v0, v30, v34
	v_fma_f32 v6, -0.5, v6, v2
	v_dual_add_f32 v10, v28, v40 :: v_dual_sub_f32 v11, v37, v41
	s_delay_alu instid0(VALU_DEP_3) | instskip(SKIP_1) | instid1(VALU_DEP_4)
	v_fma_f32 v5, -0.5, v0, v1
	v_sub_f32_e32 v0, v27, v31
	v_fmamk_f32 v8, v19, 0xbf737871, v6
	v_fmac_f32_e32 v6, 0x3f737871, v19
	s_delay_alu instid0(VALU_DEP_3) | instskip(NEXT) | instid1(VALU_DEP_3)
	v_dual_add_f32 v16, v0, v7 :: v_dual_fmamk_f32 v7, v17, 0x3f737871, v5
	v_fmac_f32_e32 v8, 0xbf167918, v20
	v_add_nc_u32_e32 v0, 0x2000, v196
	v_fmac_f32_e32 v5, 0xbf737871, v17
	s_delay_alu instid0(VALU_DEP_4) | instskip(NEXT) | instid1(VALU_DEP_3)
	v_dual_fmac_f32 v6, 0x3f167918, v20 :: v_dual_fmac_f32 v7, 0x3f167918, v18
	v_dual_fmac_f32 v8, 0x3e9e377a, v16 :: v_dual_mov_b32 v83, v0
	s_delay_alu instid0(VALU_DEP_3) | instskip(NEXT) | instid1(VALU_DEP_3)
	v_fmac_f32_e32 v5, 0xbf167918, v18
	v_dual_fmac_f32 v6, 0x3e9e377a, v16 :: v_dual_fmac_f32 v7, 0x3e9e377a, v15
	s_delay_alu instid0(VALU_DEP_2) | instskip(SKIP_3) | instid1(VALU_DEP_1)
	v_fmac_f32_e32 v5, 0x3e9e377a, v15
	ds_store_2addr_b64 v0, v[12:13], v[7:8] offset0:101 offset1:226
	v_sub_f32_e32 v0, v30, v69
	v_dual_sub_f32 v7, v34, v38 :: v_dual_add_f32 v8, v27, v39
	v_dual_add_f32 v21, v0, v7 :: v_dual_add_f32 v0, v69, v38
	s_delay_alu instid0(VALU_DEP_2) | instskip(NEXT) | instid1(VALU_DEP_2)
	v_fma_f32 v8, -0.5, v8, v2
	v_fma_f32 v7, -0.5, v0, v1
	v_sub_f32_e32 v0, v31, v27
	s_delay_alu instid0(VALU_DEP_3) | instskip(SKIP_1) | instid1(VALU_DEP_3)
	v_fmamk_f32 v12, v20, 0x3f737871, v8
	v_fmac_f32_e32 v8, 0xbf737871, v20
	v_add_f32_e32 v22, v0, v9
	v_add_f32_e32 v0, v32, v36
	s_delay_alu instid0(VALU_DEP_3) | instskip(SKIP_1) | instid1(VALU_DEP_3)
	v_fmac_f32_e32 v8, 0x3f167918, v19
	v_fmac_f32_e32 v12, 0xbf167918, v19
	v_fma_f32 v9, -0.5, v0, v3
	v_fma_f32 v3, -0.5, v10, v3
	v_sub_f32_e32 v0, v32, v28
	v_sub_f32_e32 v10, v36, v40
	v_fmac_f32_e32 v8, 0x3e9e377a, v22
	v_fmac_f32_e32 v12, 0x3e9e377a, v22
	v_fmamk_f32 v13, v42, 0xbf737871, v3
	v_fmac_f32_e32 v3, 0x3f737871, v42
	v_add_f32_e32 v24, v0, v10
	s_delay_alu instid0(VALU_DEP_3) | instskip(NEXT) | instid1(VALU_DEP_3)
	v_dual_add_f32 v0, v33, v37 :: v_dual_fmac_f32 v13, 0x3f167918, v43
	v_fmac_f32_e32 v3, 0xbf167918, v43
	s_delay_alu instid0(VALU_DEP_2) | instskip(NEXT) | instid1(VALU_DEP_3)
	v_fma_f32 v10, -0.5, v0, v4
	v_dual_add_f32 v0, v29, v41 :: v_dual_fmac_f32 v13, 0x3e9e377a, v24
	s_delay_alu instid0(VALU_DEP_3) | instskip(NEXT) | instid1(VALU_DEP_2)
	v_fmac_f32_e32 v3, 0x3e9e377a, v24
	v_fmac_f32_e32 v4, -0.5, v0
	v_sub_f32_e32 v0, v33, v29
	s_delay_alu instid0(VALU_DEP_2) | instskip(NEXT) | instid1(VALU_DEP_2)
	v_fmamk_f32 v14, v44, 0x3f737871, v4
	v_dual_add_f32 v26, v0, v11 :: v_dual_fmamk_f32 v11, v18, 0xbf737871, v7
	v_fmac_f32_e32 v7, 0x3f737871, v18
	v_fmac_f32_e32 v4, 0xbf737871, v44
	v_dual_add_f32 v0, v1, v69 :: v_dual_add_f32 v1, v2, v27
	s_delay_alu instid0(VALU_DEP_3) | instskip(NEXT) | instid1(VALU_DEP_3)
	v_dual_add_f32 v2, v23, v32 :: v_dual_fmac_f32 v7, 0xbf167918, v17
	v_fmac_f32_e32 v4, 0x3f167918, v45
	s_delay_alu instid0(VALU_DEP_3) | instskip(NEXT) | instid1(VALU_DEP_3)
	v_dual_add_f32 v0, v0, v30 :: v_dual_add_f32 v1, v1, v31
	v_dual_add_f32 v2, v2, v36 :: v_dual_fmac_f32 v7, 0x3e9e377a, v21
	s_delay_alu instid0(VALU_DEP_3) | instskip(NEXT) | instid1(VALU_DEP_3)
	v_fmac_f32_e32 v4, 0x3e9e377a, v26
	v_dual_add_f32 v0, v0, v34 :: v_dual_add_f32 v1, v1, v35
	s_delay_alu instid0(VALU_DEP_3)
	v_dual_add_f32 v2, v2, v40 :: v_dual_fmac_f32 v11, 0x3f167918, v17
	ds_store_2addr_b64 v220, v[7:8], v[3:4] offset0:62 offset1:187
	v_dual_add_f32 v3, v25, v33 :: v_dual_add_f32 v0, v0, v38
	v_add_f32_e32 v1, v1, v39
	v_sub_f32_e32 v4, v29, v33
	v_sub_f32_e32 v7, v41, v37
	s_delay_alu instid0(VALU_DEP_4) | instskip(SKIP_2) | instid1(VALU_DEP_2)
	v_add_f32_e32 v3, v3, v37
	v_fmac_f32_e32 v14, 0xbf167918, v45
	v_fmac_f32_e32 v11, 0x3e9e377a, v21
	v_dual_add_f32 v3, v3, v41 :: v_dual_fmac_f32 v14, 0x3e9e377a, v26
	ds_store_2addr_b64 v201, v[0:1], v[2:3] offset0:116 offset1:241
	v_sub_f32_e32 v2, v28, v32
	v_dual_sub_f32 v3, v40, v36 :: v_dual_fmamk_f32 v0, v43, 0x3f737871, v9
	v_fmac_f32_e32 v9, 0xbf737871, v43
	v_fmamk_f32 v1, v45, 0xbf737871, v10
	v_fmac_f32_e32 v10, 0x3f737871, v45
	s_delay_alu instid0(VALU_DEP_4)
	v_add_f32_e32 v2, v2, v3
	v_add_f32_e32 v3, v4, v7
	v_fmac_f32_e32 v9, 0xbf167918, v42
	v_fmac_f32_e32 v0, 0x3f167918, v42
	;; [unrolled: 1-line block ×4, first 2 shown]
	ds_store_2addr_b64 v202, v[11:12], v[13:14] offset0:80 offset1:205
	v_fmac_f32_e32 v9, 0x3e9e377a, v2
	v_fmac_f32_e32 v0, 0x3e9e377a, v2
	;; [unrolled: 1-line block ×4, first 2 shown]
	ds_store_2addr_b64 v203, v[5:6], v[9:10] offset0:44 offset1:169
	ds_store_b64 v196, v[0:1] offset:11000
	global_wb scope:SCOPE_SE
	s_wait_storecnt_dscnt 0x0
	s_barrier_signal -1
	s_barrier_wait -1
	global_inv scope:SCOPE_SE
	s_clause 0x1
	global_load_b64 v[4:5], v196, s[8:9] offset:30000
	global_load_b64 v[60:61], v196, s[10:11] offset:29000
	ds_load_2addr_b64 v[0:3], v196 offset1:125
	s_wait_loadcnt_dscnt 0x100
	v_mul_f32_e32 v6, v1, v5
	v_mul_f32_e32 v9, v0, v5
	s_delay_alu instid0(VALU_DEP_2) | instskip(NEXT) | instid1(VALU_DEP_2)
	v_fma_f32 v8, v0, v4, -v6
	v_fmac_f32_e32 v9, v1, v4
	s_clause 0x3
	global_load_b64 v[0:1], v196, s[10:11] offset:1000
	global_load_b64 v[4:5], v196, s[10:11] offset:2000
	;; [unrolled: 1-line block ×4, first 2 shown]
	ds_store_b64 v196, v[8:9]
	s_clause 0x3
	global_load_b64 v[8:9], v196, s[10:11] offset:10000
	global_load_b64 v[16:17], v196, s[10:11] offset:11000
	;; [unrolled: 1-line block ×4, first 2 shown]
	s_wait_loadcnt 0x7
	v_mul_f32_e32 v6, v3, v1
	v_mul_f32_e32 v59, v2, v1
	s_delay_alu instid0(VALU_DEP_2) | instskip(NEXT) | instid1(VALU_DEP_2)
	v_fma_f32 v58, v2, v0, -v6
	v_fmac_f32_e32 v59, v3, v0
	ds_load_2addr_b64 v[0:3], v76 offset0:98 offset1:223
	s_wait_loadcnt_dscnt 0x300
	v_mul_f32_e32 v6, v1, v9
	v_mul_f32_e32 v57, v0, v9
	s_wait_loadcnt 0x2
	v_mul_f32_e32 v49, v2, v17
	s_delay_alu instid0(VALU_DEP_3) | instskip(SKIP_1) | instid1(VALU_DEP_3)
	v_fma_f32 v56, v0, v8, -v6
	v_mul_f32_e32 v0, v3, v17
	v_fmac_f32_e32 v49, v3, v16
	v_fmac_f32_e32 v57, v1, v8
	s_delay_alu instid0(VALU_DEP_3)
	v_fma_f32 v48, v2, v16, -v0
	s_clause 0x1
	global_load_b64 v[16:17], v196, s[10:11] offset:20000
	global_load_b64 v[52:53], v196, s[10:11] offset:19000
	ds_load_2addr_b64 v[0:3], v77 offset0:68 offset1:193
	s_wait_loadcnt_dscnt 0x100
	v_mul_f32_e32 v6, v1, v17
	v_mul_f32_e32 v51, v0, v17
	v_mov_b32_e32 v208, v204
	s_delay_alu instid0(VALU_DEP_3) | instskip(NEXT) | instid1(VALU_DEP_3)
	v_fma_f32 v50, v0, v16, -v6
	v_fmac_f32_e32 v51, v1, v16
	s_clause 0x3
	global_load_b64 v[0:1], v196, s[10:11] offset:21000
	global_load_b64 v[16:17], v196, s[10:11] offset:22000
	;; [unrolled: 1-line block ×4, first 2 shown]
	s_wait_loadcnt 0x3
	v_mul_f32_e32 v6, v3, v1
	v_mul_f32_e32 v45, v2, v1
	s_delay_alu instid0(VALU_DEP_2) | instskip(NEXT) | instid1(VALU_DEP_2)
	v_fma_f32 v44, v2, v0, -v6
	v_fmac_f32_e32 v45, v3, v0
	ds_load_2addr_b64 v[0:3], v204 offset0:122 offset1:247
	v_mov_b32_e32 v204, v78
	s_wait_dscnt 0x0
	v_mul_f32_e32 v6, v1, v5
	v_mul_f32_e32 v47, v0, v5
	v_mul_f32_e32 v35, v2, v11
	s_delay_alu instid0(VALU_DEP_3) | instskip(NEXT) | instid1(VALU_DEP_3)
	v_fma_f32 v46, v0, v4, -v6
	v_dual_mul_f32 v0, v3, v11 :: v_dual_fmac_f32 v47, v1, v4
	s_delay_alu instid0(VALU_DEP_3) | instskip(NEXT) | instid1(VALU_DEP_2)
	v_fmac_f32_e32 v35, v3, v10
	v_fma_f32 v34, v2, v10, -v0
	ds_load_2addr_b64 v[0:3], v79 offset0:92 offset1:217
	s_wait_dscnt 0x0
	v_mul_f32_e32 v4, v1, v19
	v_mul_f32_e32 v33, v0, v19
	s_delay_alu instid0(VALU_DEP_2) | instskip(NEXT) | instid1(VALU_DEP_2)
	v_fma_f32 v32, v0, v18, -v4
	v_fmac_f32_e32 v33, v1, v18
	s_clause 0x3
	global_load_b64 v[0:1], v196, s[10:11] offset:13000
	global_load_b64 v[18:19], v196, s[10:11] offset:14000
	global_load_b64 v[36:37], v196, s[10:11] offset:15000
	global_load_b64 v[38:39], v196, s[10:11] offset:16000
	s_wait_loadcnt 0x3
	v_mul_f32_e32 v4, v3, v1
	v_mul_f32_e32 v41, v2, v1
	s_delay_alu instid0(VALU_DEP_2) | instskip(NEXT) | instid1(VALU_DEP_2)
	v_fma_f32 v40, v2, v0, -v4
	v_fmac_f32_e32 v41, v3, v0
	ds_load_2addr_b64 v[0:3], v220 offset0:62 offset1:187
	s_wait_dscnt 0x0
	v_mul_f32_e32 v4, v1, v17
	v_mul_f32_e32 v43, v0, v17
	v_mul_f32_e32 v27, v2, v29
	s_delay_alu instid0(VALU_DEP_3) | instskip(NEXT) | instid1(VALU_DEP_3)
	v_fma_f32 v42, v0, v16, -v4
	v_dual_mul_f32 v0, v3, v29 :: v_dual_fmac_f32 v43, v1, v16
	s_delay_alu instid0(VALU_DEP_3) | instskip(NEXT) | instid1(VALU_DEP_2)
	v_fmac_f32_e32 v27, v3, v28
	v_fma_f32 v26, v2, v28, -v0
	ds_load_2addr_b64 v[0:3], v201 offset0:116 offset1:241
	s_wait_dscnt 0x0
	v_mul_f32_e32 v4, v1, v13
	v_mul_f32_e32 v29, v0, v13
	s_delay_alu instid0(VALU_DEP_2) | instskip(NEXT) | instid1(VALU_DEP_2)
	v_fma_f32 v28, v0, v12, -v4
	v_fmac_f32_e32 v29, v1, v12
	s_clause 0x3
	global_load_b64 v[0:1], v196, s[10:11] offset:5000
	global_load_b64 v[12:13], v196, s[10:11] offset:6000
	global_load_b64 v[213:214], v196, s[10:11] offset:7000
	global_load_b64 v[20:21], v196, s[10:11] offset:8000
	s_wait_loadcnt 0x3
	v_mul_f32_e32 v4, v3, v1
	v_mul_f32_e32 v23, v2, v1
	s_delay_alu instid0(VALU_DEP_2) | instskip(NEXT) | instid1(VALU_DEP_2)
	v_fma_f32 v22, v2, v0, -v4
	v_fmac_f32_e32 v23, v3, v0
	ds_load_2addr_b64 v[0:3], v207 offset0:86 offset1:211
	;; [unrolled: 29-line block ×3, first 2 shown]
	s_wait_dscnt 0x0
	v_mul_f32_e32 v6, v1, v13
	v_mul_f32_e32 v11, v0, v13
	;; [unrolled: 1-line block ×3, first 2 shown]
	s_delay_alu instid0(VALU_DEP_3) | instskip(NEXT) | instid1(VALU_DEP_3)
	v_fma_f32 v10, v0, v12, -v6
	v_dual_mul_f32 v0, v3, v214 :: v_dual_fmac_f32 v11, v1, v12
	s_delay_alu instid0(VALU_DEP_3) | instskip(NEXT) | instid1(VALU_DEP_2)
	v_fmac_f32_e32 v13, v3, v213
	v_fma_f32 v12, v2, v213, -v0
	ds_load_2addr_b64 v[0:3], v202 offset0:80 offset1:205
	s_wait_dscnt 0x0
	v_mul_f32_e32 v6, v1, v39
	v_mul_f32_e32 v214, v0, v39
	s_delay_alu instid0(VALU_DEP_2) | instskip(NEXT) | instid1(VALU_DEP_2)
	v_fma_f32 v213, v0, v38, -v6
	v_fmac_f32_e32 v214, v1, v38
	s_clause 0x1
	global_load_b64 v[0:1], v196, s[10:11] offset:17000
	global_load_b64 v[38:39], v196, s[10:11] offset:18000
	s_wait_loadcnt 0x1
	v_mul_f32_e32 v6, v3, v1
	v_mul_f32_e32 v9, v2, v1
	s_delay_alu instid0(VALU_DEP_2) | instskip(NEXT) | instid1(VALU_DEP_2)
	v_fma_f32 v8, v2, v0, -v6
	v_fmac_f32_e32 v9, v3, v0
	ds_load_2addr_b64 v[0:3], v78 offset0:50 offset1:175
	s_wait_dscnt 0x0
	v_mul_f32_e32 v6, v1, v31
	v_mul_f32_e32 v7, v0, v31
	;; [unrolled: 1-line block ×3, first 2 shown]
	s_delay_alu instid0(VALU_DEP_3) | instskip(NEXT) | instid1(VALU_DEP_3)
	v_fma_f32 v6, v0, v30, -v6
	v_dual_mul_f32 v0, v3, v5 :: v_dual_fmac_f32 v7, v1, v30
	s_delay_alu instid0(VALU_DEP_3) | instskip(NEXT) | instid1(VALU_DEP_2)
	v_fmac_f32_e32 v31, v3, v4
	v_fma_f32 v30, v2, v4, -v0
	ds_load_2addr_b64 v[0:3], v85 offset0:104 offset1:229
	s_wait_dscnt 0x0
	v_mul_f32_e32 v4, v1, v21
	v_mul_f32_e32 v5, v0, v21
	v_mul_f32_e32 v21, v2, v55
	s_delay_alu instid0(VALU_DEP_3) | instskip(NEXT) | instid1(VALU_DEP_3)
	v_fma_f32 v4, v0, v20, -v4
	v_dual_mul_f32 v0, v3, v55 :: v_dual_fmac_f32 v5, v1, v20
	s_delay_alu instid0(VALU_DEP_3) | instskip(NEXT) | instid1(VALU_DEP_2)
	v_fmac_f32_e32 v21, v3, v54
	v_fma_f32 v20, v2, v54, -v0
	ds_load_2addr_b64 v[0:3], v197 offset0:74 offset1:199
	s_wait_loadcnt_dscnt 0x0
	v_mul_f32_e32 v54, v1, v39
	v_mul_f32_e32 v55, v0, v39
	;; [unrolled: 1-line block ×3, first 2 shown]
	s_delay_alu instid0(VALU_DEP_3) | instskip(NEXT) | instid1(VALU_DEP_3)
	v_fma_f32 v54, v0, v38, -v54
	v_dual_mul_f32 v0, v3, v53 :: v_dual_fmac_f32 v55, v1, v38
	s_delay_alu instid0(VALU_DEP_3) | instskip(NEXT) | instid1(VALU_DEP_2)
	v_fmac_f32_e32 v39, v3, v52
	v_fma_f32 v38, v2, v52, -v0
	ds_load_2addr_b64 v[0:3], v203 offset0:44 offset1:169
	s_wait_dscnt 0x0
	v_mul_f32_e32 v52, v1, v17
	v_mul_f32_e32 v53, v0, v17
	s_delay_alu instid0(VALU_DEP_2) | instskip(NEXT) | instid1(VALU_DEP_2)
	v_fma_f32 v52, v0, v16, -v52
	v_dual_mul_f32 v0, v3, v61 :: v_dual_fmac_f32 v53, v1, v16
	v_mul_f32_e32 v1, v2, v61
	s_delay_alu instid0(VALU_DEP_2) | instskip(SKIP_1) | instid1(VALU_DEP_3)
	v_fma_f32 v0, v2, v60, -v0
	v_add_nc_u32_e32 v2, 0x2800, v196
	v_fmac_f32_e32 v1, v3, v60
	ds_store_2addr_b64 v2, v[48:49], v[32:33] offset0:95 offset1:220
	v_add_nc_u32_e32 v2, 0x5000, v196
	ds_store_2addr_b64 v2, v[44:45], v[42:43] offset0:65 offset1:190
	v_add_nc_u32_e32 v2, 0x800, v196
	;; [unrolled: 2-line block ×7, first 2 shown]
	ds_store_2addr_b64 v2, v[30:31], v[52:53] offset0:47 offset1:172
	ds_store_2addr_b64 v196, v[58:59], v[46:47] offset0:125 offset1:250
	;; [unrolled: 1-line block ×7, first 2 shown]
	ds_store_b64 v196, v[0:1] offset:29000
	global_wb scope:SCOPE_SE
	s_wait_dscnt 0x0
	s_barrier_signal -1
	s_barrier_wait -1
	global_inv scope:SCOPE_SE
	ds_load_2addr_b64 v[0:3], v196 offset1:125
	ds_load_2addr_b64 v[4:7], v76 offset0:98 offset1:223
	ds_load_2addr_b64 v[8:11], v77 offset0:68 offset1:193
	v_mov_b32_e32 v198, v202
	s_wait_dscnt 0x1
	v_add_f32_e32 v12, v0, v4
	s_wait_dscnt 0x0
	v_add_f32_e32 v56, v4, v8
	v_sub_f32_e32 v46, v5, v9
	v_add_f32_e32 v13, v1, v5
	v_dual_add_f32 v50, v5, v9 :: v_dual_sub_f32 v47, v4, v8
	v_dual_add_f32 v4, v2, v6 :: v_dual_add_f32 v5, v3, v7
	v_dual_add_f32 v84, v6, v10 :: v_dual_sub_f32 v49, v7, v11
	v_dual_add_f32 v72, v7, v11 :: v_dual_sub_f32 v51, v6, v10
	v_dual_add_f32 v28, v12, v8 :: v_dual_add_f32 v29, v13, v9
	s_delay_alu instid0(VALU_DEP_4)
	v_dual_add_f32 v30, v4, v10 :: v_dual_add_f32 v31, v5, v11
	ds_load_2addr_b64 v[4:7], v208 offset0:122 offset1:247
	ds_load_2addr_b64 v[8:11], v79 offset0:92 offset1:217
	;; [unrolled: 1-line block ×3, first 2 shown]
	v_fma_f32 v0, -0.5, v56, v0
	v_fma_f32 v1, -0.5, v50, v1
	;; [unrolled: 1-line block ×3, first 2 shown]
	v_fmac_f32_e32 v3, -0.5, v72
	s_wait_dscnt 0x1
	v_add_f32_e32 v16, v4, v8
	s_wait_dscnt 0x0
	v_dual_add_f32 v76, v8, v12 :: v_dual_sub_f32 v53, v9, v13
	v_add_f32_e32 v17, v5, v9
	v_dual_add_f32 v54, v9, v13 :: v_dual_sub_f32 v55, v8, v12
	v_dual_add_f32 v8, v6, v10 :: v_dual_add_f32 v9, v7, v11
	v_dual_add_f32 v80, v10, v14 :: v_dual_sub_f32 v57, v11, v15
	v_dual_add_f32 v58, v11, v15 :: v_dual_sub_f32 v59, v10, v14
	v_dual_add_f32 v32, v16, v12 :: v_dual_add_f32 v33, v17, v13
	s_delay_alu instid0(VALU_DEP_4)
	v_dual_add_f32 v34, v8, v14 :: v_dual_add_f32 v35, v9, v15
	ds_load_2addr_b64 v[8:11], v201 offset0:116 offset1:241
	ds_load_2addr_b64 v[12:15], v207 offset0:86 offset1:211
	;; [unrolled: 1-line block ×3, first 2 shown]
	v_fma_f32 v6, -0.5, v80, v6
	s_wait_dscnt 0x1
	v_dual_fmac_f32 v7, -0.5, v58 :: v_dual_add_f32 v20, v8, v12
	s_wait_dscnt 0x0
	v_dual_add_f32 v60, v12, v16 :: v_dual_sub_f32 v61, v13, v17
	v_add_f32_e32 v21, v9, v13
	v_dual_add_f32 v62, v13, v17 :: v_dual_sub_f32 v63, v12, v16
	v_dual_add_f32 v12, v10, v14 :: v_dual_add_f32 v13, v11, v15
	v_dual_add_f32 v64, v14, v18 :: v_dual_sub_f32 v65, v15, v19
	v_dual_add_f32 v66, v15, v19 :: v_dual_sub_f32 v67, v14, v18
	v_dual_add_f32 v36, v20, v16 :: v_dual_add_f32 v37, v21, v17
	s_delay_alu instid0(VALU_DEP_4)
	v_dual_add_f32 v38, v12, v18 :: v_dual_add_f32 v39, v13, v19
	ds_load_2addr_b64 v[12:15], v86 offset0:110 offset1:235
	ds_load_2addr_b64 v[16:19], v202 offset0:80 offset1:205
	;; [unrolled: 1-line block ×3, first 2 shown]
	v_fma_f32 v10, -0.5, v64, v10
	v_dual_fmac_f32 v11, -0.5, v66 :: v_dual_mov_b32 v86, v197
	s_wait_dscnt 0x1
	v_add_f32_e32 v24, v12, v16
	s_wait_dscnt 0x0
	v_dual_add_f32 v68, v16, v20 :: v_dual_sub_f32 v69, v17, v21
	v_add_f32_e32 v25, v13, v17
	v_dual_add_f32 v70, v17, v21 :: v_dual_sub_f32 v71, v16, v20
	v_dual_add_f32 v16, v14, v18 :: v_dual_add_f32 v17, v15, v19
	v_dual_add_f32 v213, v18, v22 :: v_dual_sub_f32 v214, v19, v23
	v_dual_add_f32 v52, v19, v23 :: v_dual_sub_f32 v73, v18, v22
	v_dual_add_f32 v40, v24, v20 :: v_dual_add_f32 v41, v25, v21
	s_delay_alu instid0(VALU_DEP_4)
	v_dual_add_f32 v42, v16, v22 :: v_dual_add_f32 v43, v17, v23
	ds_load_2addr_b64 v[16:19], v85 offset0:104 offset1:229
	ds_load_2addr_b64 v[20:23], v197 offset0:74 offset1:199
	ds_load_2addr_b64 v[24:27], v203 offset0:44 offset1:169
	global_wb scope:SCOPE_SE
	s_wait_dscnt 0x0
	s_barrier_signal -1
	s_barrier_wait -1
	global_inv scope:SCOPE_SE
	v_fma_f32 v14, -0.5, v213, v14
	v_fmac_f32_e32 v15, -0.5, v52
	v_dual_mov_b32 v197, v203 :: v_dual_add_f32 v74, v16, v20
	v_add_f32_e32 v75, v20, v24
	v_sub_f32_e32 v44, v20, v24
	v_add_f32_e32 v20, v18, v22
	v_add_f32_e32 v81, v22, v26
	v_sub_f32_e32 v85, v22, v26
	v_add_f32_e32 v77, v17, v21
	s_delay_alu instid0(VALU_DEP_4)
	v_dual_sub_f32 v45, v21, v25 :: v_dual_add_f32 v22, v20, v26
	scratch_load_b32 v20, off, off offset:284 th:TH_LOAD_LU ; 4-byte Folded Reload
	v_dual_add_f32 v21, v21, v25 :: v_dual_add_f32 v78, v74, v24
	v_dual_add_f32 v79, v77, v25 :: v_dual_fmamk_f32 v24, v46, 0xbf5db3d7, v0
	v_dual_fmamk_f32 v25, v47, 0x3f5db3d7, v1 :: v_dual_fmac_f32 v0, 0x3f5db3d7, v46
	v_fmac_f32_e32 v1, 0xbf5db3d7, v47
	s_wait_loadcnt 0x0
	ds_store_2addr_b64 v20, v[28:29], v[24:25] offset1:1
	ds_store_b64 v20, v[0:1] offset:16
	scratch_load_b32 v20, off, off offset:280 th:TH_LOAD_LU ; 4-byte Folded Reload
	v_fmamk_f32 v0, v49, 0xbf5db3d7, v2
	v_dual_fmamk_f32 v1, v51, 0x3f5db3d7, v3 :: v_dual_fmac_f32 v2, 0x3f5db3d7, v49
	v_fmac_f32_e32 v3, 0xbf5db3d7, v51
	s_wait_loadcnt 0x0
	ds_store_2addr_b64 v20, v[30:31], v[0:1] offset1:1
	ds_store_b64 v20, v[2:3] offset:16
	v_fma_f32 v0, -0.5, v76, v4
	scratch_load_b32 v4, off, off offset:276 th:TH_LOAD_LU ; 4-byte Folded Reload
	v_fma_f32 v1, -0.5, v54, v5
	v_add_f32_e32 v48, v23, v27
	v_sub_f32_e32 v82, v23, v27
	v_fmamk_f32 v2, v53, 0xbf5db3d7, v0
	s_delay_alu instid0(VALU_DEP_4)
	v_dual_fmac_f32 v0, 0x3f5db3d7, v53 :: v_dual_fmamk_f32 v3, v55, 0x3f5db3d7, v1
	v_fmac_f32_e32 v1, 0xbf5db3d7, v55
	s_wait_loadcnt 0x0
	ds_store_2addr_b64 v4, v[32:33], v[2:3] offset1:1
	ds_store_b64 v4, v[0:1] offset:16
	scratch_load_b32 v2, off, off offset:272 th:TH_LOAD_LU ; 4-byte Folded Reload
	v_fmamk_f32 v0, v57, 0xbf5db3d7, v6
	v_dual_fmamk_f32 v1, v59, 0x3f5db3d7, v7 :: v_dual_fmac_f32 v6, 0x3f5db3d7, v57
	v_fmac_f32_e32 v7, 0xbf5db3d7, v59
	s_wait_loadcnt 0x0
	ds_store_2addr_b64 v2, v[34:35], v[0:1] offset1:1
	ds_store_b64 v2, v[6:7] offset:16
	scratch_load_b32 v4, off, off offset:268 th:TH_LOAD_LU ; 4-byte Folded Reload
	v_fma_f32 v0, -0.5, v60, v8
	v_fma_f32 v1, -0.5, v62, v9
	v_add_f32_e32 v83, v19, v23
	v_fma_f32 v18, -0.5, v81, v18
	s_delay_alu instid0(VALU_DEP_4) | instskip(NEXT) | instid1(VALU_DEP_4)
	v_dual_fmac_f32 v19, -0.5, v48 :: v_dual_fmamk_f32 v2, v61, 0xbf5db3d7, v0
	v_dual_fmamk_f32 v3, v63, 0x3f5db3d7, v1 :: v_dual_fmac_f32 v0, 0x3f5db3d7, v61
	v_fmac_f32_e32 v1, 0xbf5db3d7, v63
	s_wait_loadcnt 0x0
	ds_store_2addr_b64 v4, v[36:37], v[2:3] offset1:1
	ds_store_b64 v4, v[0:1] offset:16
	scratch_load_b32 v2, off, off offset:264 th:TH_LOAD_LU ; 4-byte Folded Reload
	v_fmamk_f32 v0, v65, 0xbf5db3d7, v10
	v_dual_fmamk_f32 v1, v67, 0x3f5db3d7, v11 :: v_dual_fmac_f32 v10, 0x3f5db3d7, v65
	v_fmac_f32_e32 v11, 0xbf5db3d7, v67
	s_wait_loadcnt 0x0
	ds_store_2addr_b64 v2, v[38:39], v[0:1] offset1:1
	ds_store_b64 v2, v[10:11] offset:16
	scratch_load_b32 v4, off, off offset:260 th:TH_LOAD_LU ; 4-byte Folded Reload
	v_fma_f32 v0, -0.5, v68, v12
	v_fma_f32 v1, -0.5, v70, v13
	v_add_f32_e32 v23, v83, v27
	s_delay_alu instid0(VALU_DEP_3) | instskip(NEXT) | instid1(VALU_DEP_3)
	v_dual_mov_b32 v33, v86 :: v_dual_fmamk_f32 v2, v69, 0xbf5db3d7, v0
	v_dual_fmamk_f32 v3, v71, 0x3f5db3d7, v1 :: v_dual_fmac_f32 v0, 0x3f5db3d7, v69
	v_fmac_f32_e32 v1, 0xbf5db3d7, v71
	s_wait_loadcnt 0x0
	ds_store_2addr_b64 v4, v[40:41], v[2:3] offset1:1
	ds_store_b64 v4, v[0:1] offset:16
	scratch_load_b32 v2, off, off offset:256 th:TH_LOAD_LU ; 4-byte Folded Reload
	v_fmamk_f32 v0, v214, 0xbf5db3d7, v14
	v_dual_fmamk_f32 v1, v73, 0x3f5db3d7, v15 :: v_dual_fmac_f32 v14, 0x3f5db3d7, v214
	v_fmac_f32_e32 v15, 0xbf5db3d7, v73
	s_wait_loadcnt 0x0
	ds_store_2addr_b64 v2, v[42:43], v[0:1] offset1:1
	ds_store_b64 v2, v[14:15] offset:16
	scratch_load_b32 v4, off, off offset:252 th:TH_LOAD_LU ; 4-byte Folded Reload
	v_fma_f32 v0, -0.5, v75, v16
	v_fma_f32 v1, -0.5, v21, v17
	s_delay_alu instid0(VALU_DEP_2) | instskip(NEXT) | instid1(VALU_DEP_2)
	v_fmamk_f32 v2, v45, 0xbf5db3d7, v0
	v_dual_fmamk_f32 v3, v44, 0x3f5db3d7, v1 :: v_dual_fmac_f32 v0, 0x3f5db3d7, v45
	v_fmac_f32_e32 v1, 0xbf5db3d7, v44
	s_wait_loadcnt 0x0
	ds_store_2addr_b64 v4, v[78:79], v[2:3] offset1:1
	ds_store_b64 v4, v[0:1] offset:16
	scratch_load_b32 v2, off, off offset:288 th:TH_LOAD_LU ; 4-byte Folded Reload
	v_fmamk_f32 v0, v82, 0xbf5db3d7, v18
	v_dual_fmamk_f32 v1, v85, 0x3f5db3d7, v19 :: v_dual_fmac_f32 v18, 0x3f5db3d7, v82
	v_fmac_f32_e32 v19, 0xbf5db3d7, v85
	s_wait_loadcnt 0x0
	ds_store_2addr_b64 v2, v[22:23], v[0:1] offset1:1
	ds_store_b64 v2, v[18:19] offset:16
	global_wb scope:SCOPE_SE
	s_wait_dscnt 0x0
	s_barrier_signal -1
	s_barrier_wait -1
	global_inv scope:SCOPE_SE
	ds_load_2addr_b64 v[0:3], v90 offset0:110 offset1:235
	ds_load_2addr_b64 v[4:7], v89 offset0:92 offset1:217
	s_wait_dscnt 0x1
	v_mul_f32_e32 v213, v210, v1
	s_wait_dscnt 0x0
	v_dual_mul_f32 v214, v212, v5 :: v_dual_mul_f32 v19, v193, v3
	s_delay_alu instid0(VALU_DEP_2) | instskip(SKIP_1) | instid1(VALU_DEP_3)
	v_fmac_f32_e32 v213, v209, v0
	v_mul_f32_e32 v0, v210, v0
	v_dual_fmac_f32 v214, v211, v4 :: v_dual_fmac_f32 v19, v192, v2
	s_delay_alu instid0(VALU_DEP_2) | instskip(SKIP_1) | instid1(VALU_DEP_1)
	v_fma_f32 v210, v209, v1, -v0
	v_dual_mul_f32 v0, v212, v4 :: v_dual_mul_f32 v209, v195, v7
	v_fma_f32 v211, v211, v5, -v0
	v_mul_f32_e32 v0, v193, v2
	s_delay_alu instid0(VALU_DEP_3) | instskip(NEXT) | instid1(VALU_DEP_2)
	v_fmac_f32_e32 v209, v194, v6
	v_fma_f32 v17, v192, v3, -v0
	v_mul_f32_e32 v0, v195, v6
	s_delay_alu instid0(VALU_DEP_1) | instskip(SKIP_4) | instid1(VALU_DEP_1)
	v_fma_f32 v194, v194, v7, -v0
	scratch_load_b128 v[6:9], off, off offset:532 th:TH_LOAD_LU ; 16-byte Folded Reload
	ds_load_2addr_b64 v[0:3], v86 offset0:74 offset1:199
	s_wait_loadcnt_dscnt 0x0
	v_mul_f32_e32 v212, v7, v1
	v_fmac_f32_e32 v212, v6, v0
	v_mul_f32_e32 v0, v7, v0
	s_delay_alu instid0(VALU_DEP_2) | instskip(NEXT) | instid1(VALU_DEP_2)
	v_sub_f32_e32 v31, v214, v212
	v_fma_f32 v205, v6, v1, -v0
	ds_load_2addr_b64 v[4:7], v88 offset0:56 offset1:181
	v_sub_f32_e32 v29, v211, v205
	s_wait_dscnt 0x0
	v_mul_f32_e32 v12, v9, v5
	v_mul_f32_e32 v0, v9, v4
	s_delay_alu instid0(VALU_DEP_2) | instskip(NEXT) | instid1(VALU_DEP_2)
	v_fmac_f32_e32 v12, v8, v4
	v_fma_f32 v206, v8, v5, -v0
	scratch_load_b128 v[8:11], off, off offset:500 th:TH_LOAD_LU ; 16-byte Folded Reload
	v_sub_f32_e32 v30, v213, v12
	v_sub_f32_e32 v28, v210, v206
	s_wait_loadcnt 0x0
	v_mul_f32_e32 v0, v9, v2
	v_mul_f32_e32 v195, v9, v3
	;; [unrolled: 1-line block ×3, first 2 shown]
	s_delay_alu instid0(VALU_DEP_3) | instskip(SKIP_1) | instid1(VALU_DEP_4)
	v_fma_f32 v201, v8, v3, -v0
	v_mul_f32_e32 v0, v11, v6
	v_fmac_f32_e32 v195, v8, v2
	s_delay_alu instid0(VALU_DEP_4) | instskip(NEXT) | instid1(VALU_DEP_3)
	v_fmac_f32_e32 v202, v10, v6
	v_fma_f32 v203, v10, v7, -v0
	ds_load_2addr_b64 v[0:3], v87 offset0:104 offset1:229
	ds_load_2addr_b64 v[4:7], v207 offset0:86 offset1:211
	ds_load_2addr_b64 v[8:11], v196 offset1:125
	s_wait_dscnt 0x2
	v_mul_f32_e32 v193, v105, v1
	s_wait_dscnt 0x1
	s_delay_alu instid0(VALU_DEP_1) | instskip(SKIP_1) | instid1(VALU_DEP_2)
	v_dual_mul_f32 v16, v107, v5 :: v_dual_fmac_f32 v193, v104, v0
	v_mul_f32_e32 v0, v105, v0
	v_dual_fmac_f32 v16, v106, v4 :: v_dual_mul_f32 v105, v103, v7
	s_delay_alu instid0(VALU_DEP_2) | instskip(SKIP_1) | instid1(VALU_DEP_3)
	v_fma_f32 v192, v104, v1, -v0
	v_mul_f32_e32 v0, v107, v4
	v_dual_mul_f32 v104, v101, v3 :: v_dual_fmac_f32 v105, v102, v6
	s_delay_alu instid0(VALU_DEP_2) | instskip(SKIP_1) | instid1(VALU_DEP_3)
	v_fma_f32 v106, v106, v5, -v0
	v_mul_f32_e32 v0, v101, v2
	v_fmac_f32_e32 v104, v100, v2
	s_delay_alu instid0(VALU_DEP_2) | instskip(SKIP_1) | instid1(VALU_DEP_1)
	v_fma_f32 v100, v100, v3, -v0
	v_mul_f32_e32 v0, v103, v6
	v_fma_f32 v101, v102, v7, -v0
	ds_load_2addr_b64 v[0:3], v91 offset0:68 offset1:193
	ds_load_2addr_b64 v[4:7], v204 offset0:50 offset1:175
	s_wait_dscnt 0x1
	v_mul_f32_e32 v102, v97, v1
	s_wait_dscnt 0x0
	s_delay_alu instid0(VALU_DEP_1) | instskip(SKIP_1) | instid1(VALU_DEP_2)
	v_dual_mul_f32 v103, v99, v5 :: v_dual_fmac_f32 v102, v96, v0
	v_mul_f32_e32 v0, v97, v0
	v_fmac_f32_e32 v103, v98, v4
	s_delay_alu instid0(VALU_DEP_2) | instskip(SKIP_2) | instid1(VALU_DEP_2)
	v_fma_f32 v18, v96, v1, -v0
	v_mul_f32_e32 v0, v99, v4
	v_mul_f32_e32 v96, v93, v3
	v_fma_f32 v99, v98, v5, -v0
	v_mul_f32_e32 v0, v93, v2
	v_mul_f32_e32 v98, v95, v7
	s_delay_alu instid0(VALU_DEP_4) | instskip(NEXT) | instid1(VALU_DEP_3)
	v_fmac_f32_e32 v96, v92, v2
	v_fma_f32 v97, v92, v3, -v0
	v_mul_f32_e32 v0, v95, v6
	s_delay_alu instid0(VALU_DEP_4) | instskip(NEXT) | instid1(VALU_DEP_2)
	v_fmac_f32_e32 v98, v94, v6
	v_fma_f32 v94, v94, v7, -v0
	ds_load_2addr_b64 v[0:3], v200 offset0:98 offset1:223
	ds_load_2addr_b64 v[4:7], v198 offset0:80 offset1:205
	s_wait_dscnt 0x1
	v_mul_f32_e32 v92, v222, v1
	v_mul_f32_e32 v13, v230, v3
	s_wait_dscnt 0x0
	v_mul_f32_e32 v93, v224, v5
	s_delay_alu instid0(VALU_DEP_3) | instskip(NEXT) | instid1(VALU_DEP_3)
	v_dual_mul_f32 v15, v232, v7 :: v_dual_fmac_f32 v92, v221, v0
	v_dual_mul_f32 v0, v222, v0 :: v_dual_fmac_f32 v13, v229, v2
	s_delay_alu instid0(VALU_DEP_3) | instskip(NEXT) | instid1(VALU_DEP_3)
	v_fmac_f32_e32 v93, v223, v4
	v_fmac_f32_e32 v15, v231, v6
	s_delay_alu instid0(VALU_DEP_3) | instskip(SKIP_1) | instid1(VALU_DEP_1)
	v_fma_f32 v84, v221, v1, -v0
	v_mul_f32_e32 v0, v224, v4
	v_fma_f32 v85, v223, v5, -v0
	v_mul_f32_e32 v0, v230, v2
	s_delay_alu instid0(VALU_DEP_1) | instskip(SKIP_1) | instid1(VALU_DEP_1)
	v_fma_f32 v86, v229, v3, -v0
	v_mul_f32_e32 v0, v232, v6
	v_fma_f32 v14, v231, v7, -v0
	ds_load_2addr_b64 v[0:3], v220 offset0:62 offset1:187
	ds_load_2addr_b64 v[4:7], v197 offset0:44 offset1:169
	s_wait_dscnt 0x1
	v_mul_f32_e32 v76, v238, v1
	s_wait_dscnt 0x0
	v_dual_mul_f32 v77, v240, v5 :: v_dual_mul_f32 v68, v242, v3
	s_delay_alu instid0(VALU_DEP_2) | instskip(SKIP_1) | instid1(VALU_DEP_3)
	v_dual_mul_f32 v65, v244, v7 :: v_dual_fmac_f32 v76, v237, v0
	v_mul_f32_e32 v0, v238, v0
	v_dual_fmac_f32 v77, v239, v4 :: v_dual_fmac_f32 v68, v241, v2
	s_delay_alu instid0(VALU_DEP_3) | instskip(NEXT) | instid1(VALU_DEP_3)
	v_fmac_f32_e32 v65, v243, v6
	v_fma_f32 v69, v237, v1, -v0
	v_mul_f32_e32 v0, v240, v4
	v_sub_f32_e32 v1, v12, v212
	s_delay_alu instid0(VALU_DEP_2) | instskip(SKIP_1) | instid1(VALU_DEP_1)
	v_fma_f32 v70, v239, v5, -v0
	v_mul_f32_e32 v0, v242, v2
	v_fma_f32 v64, v241, v3, -v0
	v_mul_f32_e32 v0, v244, v6
	s_delay_alu instid0(VALU_DEP_1) | instskip(SKIP_1) | instid1(VALU_DEP_1)
	v_fma_f32 v66, v243, v7, -v0
	v_sub_f32_e32 v0, v213, v214
	v_add_f32_e32 v26, v0, v1
	v_dual_add_f32 v0, v8, v213 :: v_dual_add_f32 v1, v9, v210
	s_delay_alu instid0(VALU_DEP_1) | instskip(NEXT) | instid1(VALU_DEP_1)
	v_dual_add_f32 v0, v0, v214 :: v_dual_add_f32 v1, v1, v211
	v_dual_add_f32 v0, v0, v212 :: v_dual_add_f32 v1, v1, v205
	s_delay_alu instid0(VALU_DEP_1) | instskip(SKIP_1) | instid1(VALU_DEP_1)
	v_dual_add_f32 v20, v0, v12 :: v_dual_add_f32 v21, v1, v206
	v_dual_add_f32 v0, v214, v212 :: v_dual_add_f32 v1, v211, v205
	v_fma_f32 v22, -0.5, v0, v8
	s_delay_alu instid0(VALU_DEP_2) | instskip(SKIP_1) | instid1(VALU_DEP_3)
	v_fma_f32 v23, -0.5, v1, v9
	v_sub_f32_e32 v0, v210, v211
	v_dual_sub_f32 v1, v206, v205 :: v_dual_fmamk_f32 v24, v28, 0xbf737871, v22
	s_delay_alu instid0(VALU_DEP_3) | instskip(NEXT) | instid1(VALU_DEP_2)
	v_dual_fmamk_f32 v25, v30, 0x3f737871, v23 :: v_dual_fmac_f32 v22, 0x3f737871, v28
	v_add_f32_e32 v27, v0, v1
	ds_load_2addr_b64 v[4:7], v208 offset0:122 offset1:247
	ds_load_2addr_b64 v[0:3], v199 offset0:116 offset1:241
	global_wb scope:SCOPE_SE
	s_wait_dscnt 0x0
	s_barrier_signal -1
	s_barrier_wait -1
	global_inv scope:SCOPE_SE
	scratch_load_b32 v32, off, off offset:292 th:TH_LOAD_LU ; 4-byte Folded Reload
	v_fmac_f32_e32 v24, 0xbf167918, v29
	v_fmac_f32_e32 v25, 0x3f167918, v31
	v_fmac_f32_e32 v23, 0xbf737871, v30
	v_fmac_f32_e32 v22, 0x3f167918, v29
	s_delay_alu instid0(VALU_DEP_3) | instskip(NEXT) | instid1(VALU_DEP_3)
	v_dual_fmac_f32 v24, 0x3e9e377a, v26 :: v_dual_fmac_f32 v25, 0x3e9e377a, v27
	v_fmac_f32_e32 v23, 0xbf167918, v31
	s_delay_alu instid0(VALU_DEP_3) | instskip(SKIP_1) | instid1(VALU_DEP_3)
	v_fmac_f32_e32 v22, 0x3e9e377a, v26
	v_sub_f32_e32 v26, v209, v195
	v_fmac_f32_e32 v23, 0x3e9e377a, v27
	v_sub_f32_e32 v27, v19, v202
	s_wait_loadcnt 0x0
	ds_store_2addr_b64 v32, v[20:21], v[24:25] offset1:3
	v_dual_sub_f32 v20, v214, v213 :: v_dual_sub_f32 v21, v212, v12
	v_add_f32_e32 v12, v213, v12
	v_sub_f32_e32 v24, v205, v206
	ds_store_b64 v32, v[22:23] offset:96
	v_sub_f32_e32 v22, v194, v201
	v_dual_add_f32 v21, v20, v21 :: v_dual_add_f32 v20, v210, v206
	v_fma_f32 v8, -0.5, v12, v8
	v_dual_sub_f32 v12, v211, v210 :: v_dual_sub_f32 v23, v17, v203
	v_sub_f32_e32 v25, v201, v203
	s_delay_alu instid0(VALU_DEP_4) | instskip(NEXT) | instid1(VALU_DEP_4)
	v_fma_f32 v9, -0.5, v20, v9
	v_fmamk_f32 v20, v29, 0x3f737871, v8
	v_fmac_f32_e32 v8, 0xbf737871, v29
	v_add_f32_e32 v12, v12, v24
	v_add_f32_e32 v24, v11, v17
	s_delay_alu instid0(VALU_DEP_4) | instskip(NEXT) | instid1(VALU_DEP_4)
	v_fmac_f32_e32 v20, 0xbf167918, v28
	v_fmac_f32_e32 v8, 0x3f167918, v28
	s_delay_alu instid0(VALU_DEP_2) | instskip(NEXT) | instid1(VALU_DEP_2)
	v_fmac_f32_e32 v20, 0x3e9e377a, v21
	v_fmac_f32_e32 v8, 0x3e9e377a, v21
	v_fmamk_f32 v21, v31, 0xbf737871, v9
	v_fmac_f32_e32 v9, 0x3f737871, v31
	s_delay_alu instid0(VALU_DEP_2) | instskip(NEXT) | instid1(VALU_DEP_2)
	v_fmac_f32_e32 v21, 0x3f167918, v30
	v_fmac_f32_e32 v9, 0xbf167918, v30
	s_delay_alu instid0(VALU_DEP_2) | instskip(NEXT) | instid1(VALU_DEP_2)
	v_fmac_f32_e32 v21, 0x3e9e377a, v12
	v_dual_fmac_f32 v9, 0x3e9e377a, v12 :: v_dual_add_f32 v12, v10, v19
	ds_store_2addr_b64 v32, v[20:21], v[8:9] offset0:6 offset1:9
	v_dual_add_f32 v8, v209, v195 :: v_dual_add_f32 v9, v19, v202
	v_dual_sub_f32 v20, v195, v202 :: v_dual_add_f32 v21, v17, v203
	s_delay_alu instid0(VALU_DEP_2) | instskip(NEXT) | instid1(VALU_DEP_3)
	v_fma_f32 v8, -0.5, v8, v10
	v_fma_f32 v10, -0.5, v9, v10
	v_sub_f32_e32 v9, v209, v19
	s_delay_alu instid0(VALU_DEP_1) | instskip(SKIP_1) | instid1(VALU_DEP_2)
	v_dual_add_f32 v9, v9, v20 :: v_dual_fmamk_f32 v20, v22, 0x3f737871, v10
	v_fmac_f32_e32 v10, 0xbf737871, v22
	v_fmac_f32_e32 v20, 0xbf167918, v23
	s_delay_alu instid0(VALU_DEP_2) | instskip(NEXT) | instid1(VALU_DEP_2)
	v_fmac_f32_e32 v10, 0x3f167918, v23
	v_fmac_f32_e32 v20, 0x3e9e377a, v9
	s_delay_alu instid0(VALU_DEP_2) | instskip(SKIP_1) | instid1(VALU_DEP_1)
	v_fmac_f32_e32 v10, 0x3e9e377a, v9
	v_add_f32_e32 v9, v194, v201
	v_fma_f32 v9, -0.5, v9, v11
	v_fmac_f32_e32 v11, -0.5, v21
	v_sub_f32_e32 v21, v194, v17
	v_sub_f32_e32 v17, v17, v194
	s_delay_alu instid0(VALU_DEP_2) | instskip(NEXT) | instid1(VALU_DEP_4)
	v_add_f32_e32 v25, v21, v25
	v_fmamk_f32 v21, v26, 0xbf737871, v11
	v_fmac_f32_e32 v11, 0x3f737871, v26
	s_delay_alu instid0(VALU_DEP_2) | instskip(NEXT) | instid1(VALU_DEP_2)
	v_fmac_f32_e32 v21, 0x3f167918, v27
	v_fmac_f32_e32 v11, 0xbf167918, v27
	s_delay_alu instid0(VALU_DEP_2) | instskip(NEXT) | instid1(VALU_DEP_2)
	v_fmac_f32_e32 v21, 0x3e9e377a, v25
	v_fmac_f32_e32 v11, 0x3e9e377a, v25
	scratch_load_b32 v25, off, off offset:296 th:TH_LOAD_LU ; 4-byte Folded Reload
	s_wait_loadcnt 0x0
	ds_store_2addr_b64 v25, v[20:21], v[10:11] offset0:6 offset1:9
	v_add_f32_e32 v10, v12, v209
	v_dual_sub_f32 v12, v19, v209 :: v_dual_sub_f32 v19, v202, v195
	v_dual_sub_f32 v20, v203, v201 :: v_dual_add_f32 v11, v24, v194
	s_delay_alu instid0(VALU_DEP_3) | instskip(SKIP_1) | instid1(VALU_DEP_3)
	v_add_f32_e32 v10, v10, v195
	v_sub_f32_e32 v21, v192, v99
	v_dual_add_f32 v12, v12, v19 :: v_dual_add_f32 v17, v17, v20
	v_fmamk_f32 v19, v23, 0xbf737871, v8
	v_fmamk_f32 v20, v27, 0x3f737871, v9
	v_fmac_f32_e32 v8, 0x3f737871, v23
	v_fmac_f32_e32 v9, 0xbf737871, v27
	v_add_f32_e32 v11, v11, v201
	v_fmac_f32_e32 v19, 0xbf167918, v22
	v_fmac_f32_e32 v20, 0x3f167918, v26
	v_fmac_f32_e32 v8, 0x3f167918, v22
	v_fmac_f32_e32 v9, 0xbf167918, v26
	v_dual_add_f32 v10, v10, v202 :: v_dual_add_f32 v11, v11, v203
	s_delay_alu instid0(VALU_DEP_4) | instskip(NEXT) | instid1(VALU_DEP_3)
	v_dual_fmac_f32 v19, 0x3e9e377a, v12 :: v_dual_fmac_f32 v20, 0x3e9e377a, v17
	v_dual_fmac_f32 v8, 0x3e9e377a, v12 :: v_dual_fmac_f32 v9, 0x3e9e377a, v17
	v_sub_f32_e32 v17, v192, v106
	v_sub_f32_e32 v23, v193, v103
	ds_store_2addr_b64 v25, v[10:11], v[19:20] offset1:3
	v_add_f32_e32 v10, v16, v102
	ds_store_b64 v25, v[8:9] offset:96
	scratch_load_b32 v25, off, off offset:300 th:TH_LOAD_LU ; 4-byte Folded Reload
	v_dual_sub_f32 v8, v193, v16 :: v_dual_sub_f32 v9, v103, v102
	v_add_f32_e32 v11, v106, v18
	v_fma_f32 v10, -0.5, v10, v4
	v_sub_f32_e32 v19, v99, v18
	v_sub_f32_e32 v22, v106, v18
	v_add_f32_e32 v12, v8, v9
	v_dual_add_f32 v8, v4, v193 :: v_dual_add_f32 v9, v5, v192
	v_fma_f32 v11, -0.5, v11, v5
	v_add_f32_e32 v17, v17, v19
	s_delay_alu instid0(VALU_DEP_3) | instskip(NEXT) | instid1(VALU_DEP_3)
	v_dual_fmamk_f32 v19, v21, 0xbf737871, v10 :: v_dual_add_f32 v8, v8, v16
	v_dual_add_f32 v9, v9, v106 :: v_dual_fmamk_f32 v20, v23, 0x3f737871, v11
	v_sub_f32_e32 v24, v16, v102
	s_delay_alu instid0(VALU_DEP_3) | instskip(NEXT) | instid1(VALU_DEP_4)
	v_fmac_f32_e32 v19, 0xbf167918, v22
	v_add_f32_e32 v8, v8, v102
	s_delay_alu instid0(VALU_DEP_4) | instskip(NEXT) | instid1(VALU_DEP_4)
	v_dual_add_f32 v9, v9, v18 :: v_dual_sub_f32 v18, v18, v99
	v_fmac_f32_e32 v20, 0x3f167918, v24
	s_delay_alu instid0(VALU_DEP_3) | instskip(NEXT) | instid1(VALU_DEP_3)
	v_dual_fmac_f32 v19, 0x3e9e377a, v12 :: v_dual_add_f32 v8, v8, v103
	v_dual_add_f32 v9, v9, v99 :: v_dual_fmac_f32 v10, 0x3f737871, v21
	s_delay_alu instid0(VALU_DEP_3) | instskip(SKIP_1) | instid1(VALU_DEP_3)
	v_fmac_f32_e32 v20, 0x3e9e377a, v17
	v_fmac_f32_e32 v11, 0xbf737871, v23
	;; [unrolled: 1-line block ×3, first 2 shown]
	s_delay_alu instid0(VALU_DEP_2) | instskip(NEXT) | instid1(VALU_DEP_2)
	v_fmac_f32_e32 v11, 0xbf167918, v24
	v_fmac_f32_e32 v10, 0x3e9e377a, v12
	s_delay_alu instid0(VALU_DEP_2)
	v_dual_sub_f32 v12, v100, v94 :: v_dual_fmac_f32 v11, 0x3e9e377a, v17
	v_sub_f32_e32 v17, v97, v94
	s_wait_loadcnt 0x0
	ds_store_2addr_b64 v25, v[8:9], v[19:20] offset1:3
	scratch_load_b32 v20, off, off offset:308 th:TH_LOAD_LU ; 4-byte Folded Reload
	v_dual_sub_f32 v8, v16, v193 :: v_dual_sub_f32 v9, v102, v103
	v_add_f32_e32 v16, v193, v103
	ds_store_b64 v25, v[10:11] offset:96
	v_dual_add_f32 v10, v6, v104 :: v_dual_sub_f32 v11, v101, v97
	v_add_f32_e32 v9, v8, v9
	v_add_f32_e32 v8, v192, v99
	v_fma_f32 v4, -0.5, v16, v4
	v_dual_sub_f32 v16, v106, v192 :: v_dual_sub_f32 v19, v104, v98
	s_delay_alu instid0(VALU_DEP_3) | instskip(NEXT) | instid1(VALU_DEP_3)
	v_fma_f32 v5, -0.5, v8, v5
	v_fmamk_f32 v8, v22, 0x3f737871, v4
	v_fmac_f32_e32 v4, 0xbf737871, v22
	s_delay_alu instid0(VALU_DEP_4) | instskip(SKIP_1) | instid1(VALU_DEP_4)
	v_add_f32_e32 v16, v16, v18
	v_sub_f32_e32 v18, v105, v96
	v_fmac_f32_e32 v8, 0xbf167918, v21
	s_delay_alu instid0(VALU_DEP_4) | instskip(NEXT) | instid1(VALU_DEP_2)
	v_fmac_f32_e32 v4, 0x3f167918, v21
	v_fmac_f32_e32 v8, 0x3e9e377a, v9
	s_delay_alu instid0(VALU_DEP_2) | instskip(SKIP_2) | instid1(VALU_DEP_2)
	v_fmac_f32_e32 v4, 0x3e9e377a, v9
	v_fmamk_f32 v9, v24, 0xbf737871, v5
	v_fmac_f32_e32 v5, 0x3f737871, v24
	v_fmac_f32_e32 v9, 0x3f167918, v23
	s_delay_alu instid0(VALU_DEP_2) | instskip(NEXT) | instid1(VALU_DEP_2)
	v_fmac_f32_e32 v5, 0xbf167918, v23
	v_fmac_f32_e32 v9, 0x3e9e377a, v16
	s_delay_alu instid0(VALU_DEP_2)
	v_fmac_f32_e32 v5, 0x3e9e377a, v16
	v_add_f32_e32 v16, v7, v100
	ds_store_2addr_b64 v25, v[8:9], v[4:5] offset0:6 offset1:9
	v_dual_add_f32 v4, v105, v96 :: v_dual_add_f32 v5, v104, v98
	v_sub_f32_e32 v8, v96, v98
	v_add_f32_e32 v9, v100, v94
	s_delay_alu instid0(VALU_DEP_3) | instskip(NEXT) | instid1(VALU_DEP_4)
	v_fma_f32 v4, -0.5, v4, v6
	v_fma_f32 v6, -0.5, v5, v6
	v_sub_f32_e32 v5, v105, v104
	s_delay_alu instid0(VALU_DEP_1) | instskip(SKIP_1) | instid1(VALU_DEP_2)
	v_dual_add_f32 v5, v5, v8 :: v_dual_fmamk_f32 v8, v11, 0x3f737871, v6
	v_fmac_f32_e32 v6, 0xbf737871, v11
	v_fmac_f32_e32 v8, 0xbf167918, v12
	s_delay_alu instid0(VALU_DEP_2) | instskip(NEXT) | instid1(VALU_DEP_2)
	v_fmac_f32_e32 v6, 0x3f167918, v12
	v_fmac_f32_e32 v8, 0x3e9e377a, v5
	s_delay_alu instid0(VALU_DEP_2) | instskip(SKIP_1) | instid1(VALU_DEP_1)
	v_fmac_f32_e32 v6, 0x3e9e377a, v5
	v_add_f32_e32 v5, v101, v97
	v_fma_f32 v5, -0.5, v5, v7
	v_fmac_f32_e32 v7, -0.5, v9
	v_sub_f32_e32 v9, v101, v100
	s_delay_alu instid0(VALU_DEP_1) | instskip(NEXT) | instid1(VALU_DEP_3)
	v_add_f32_e32 v17, v9, v17
	v_fmamk_f32 v9, v18, 0xbf737871, v7
	v_fmac_f32_e32 v7, 0x3f737871, v18
	s_delay_alu instid0(VALU_DEP_2) | instskip(NEXT) | instid1(VALU_DEP_2)
	v_fmac_f32_e32 v9, 0x3f167918, v19
	v_fmac_f32_e32 v7, 0xbf167918, v19
	s_delay_alu instid0(VALU_DEP_2) | instskip(NEXT) | instid1(VALU_DEP_2)
	v_fmac_f32_e32 v9, 0x3e9e377a, v17
	v_fmac_f32_e32 v7, 0x3e9e377a, v17
	s_wait_loadcnt 0x0
	ds_store_2addr_b64 v20, v[8:9], v[6:7] offset0:6 offset1:9
	v_dual_sub_f32 v8, v104, v105 :: v_dual_sub_f32 v9, v98, v96
	v_add_f32_e32 v6, v10, v105
	v_add_f32_e32 v7, v16, v101
	v_sub_f32_e32 v10, v100, v101
	v_sub_f32_e32 v16, v94, v97
	v_add_f32_e32 v17, v8, v9
	v_fmamk_f32 v9, v19, 0x3f737871, v5
	v_fmac_f32_e32 v5, 0xbf737871, v19
	scratch_load_b32 v19, off, off offset:312 th:TH_LOAD_LU ; 4-byte Folded Reload
	v_fmamk_f32 v8, v12, 0xbf737871, v4
	v_fmac_f32_e32 v4, 0x3f737871, v12
	v_dual_add_f32 v6, v6, v96 :: v_dual_add_f32 v7, v7, v97
	v_add_f32_e32 v10, v10, v16
	s_delay_alu instid0(VALU_DEP_4) | instskip(NEXT) | instid1(VALU_DEP_4)
	v_fmac_f32_e32 v8, 0xbf167918, v11
	v_dual_fmac_f32 v9, 0x3f167918, v18 :: v_dual_fmac_f32 v4, 0x3f167918, v11
	v_fmac_f32_e32 v5, 0xbf167918, v18
	v_add_f32_e32 v6, v6, v98
	s_delay_alu instid0(VALU_DEP_4) | instskip(NEXT) | instid1(VALU_DEP_4)
	v_dual_add_f32 v7, v7, v94 :: v_dual_fmac_f32 v8, 0x3e9e377a, v17
	v_dual_fmac_f32 v9, 0x3e9e377a, v10 :: v_dual_fmac_f32 v4, 0x3e9e377a, v17
	s_delay_alu instid0(VALU_DEP_4)
	v_fmac_f32_e32 v5, 0x3e9e377a, v10
	v_sub_f32_e32 v12, v84, v70
	v_sub_f32_e32 v17, v92, v77
	ds_store_2addr_b64 v20, v[6:7], v[8:9] offset1:3
	v_add_f32_e32 v6, v93, v76
	ds_store_b64 v20, v[4:5] offset:96
	v_dual_sub_f32 v4, v92, v93 :: v_dual_sub_f32 v5, v77, v76
	v_add_f32_e32 v7, v85, v69
	v_fma_f32 v6, -0.5, v6, v0
	v_sub_f32_e32 v8, v84, v85
	v_sub_f32_e32 v9, v70, v69
	v_add_f32_e32 v10, v4, v5
	v_add_f32_e32 v4, v0, v92
	;; [unrolled: 1-line block ×3, first 2 shown]
	v_fma_f32 v7, -0.5, v7, v1
	v_add_f32_e32 v11, v8, v9
	v_sub_f32_e32 v16, v85, v69
	v_add_f32_e32 v4, v4, v93
	v_dual_add_f32 v5, v5, v85 :: v_dual_fmamk_f32 v8, v12, 0xbf737871, v6
	v_fmamk_f32 v9, v17, 0x3f737871, v7
	v_sub_f32_e32 v18, v93, v76
	s_delay_alu instid0(VALU_DEP_3) | instskip(NEXT) | instid1(VALU_DEP_4)
	v_dual_add_f32 v4, v4, v76 :: v_dual_add_f32 v5, v5, v69
	v_fmac_f32_e32 v8, 0xbf167918, v16
	v_fmac_f32_e32 v6, 0x3f737871, v12
	s_delay_alu instid0(VALU_DEP_3) | instskip(NEXT) | instid1(VALU_DEP_4)
	v_dual_fmac_f32 v9, 0x3f167918, v18 :: v_dual_add_f32 v4, v4, v77
	v_add_f32_e32 v5, v5, v70
	s_delay_alu instid0(VALU_DEP_4) | instskip(NEXT) | instid1(VALU_DEP_4)
	v_fmac_f32_e32 v8, 0x3e9e377a, v10
	v_fmac_f32_e32 v6, 0x3f167918, v16
	s_delay_alu instid0(VALU_DEP_4) | instskip(SKIP_1) | instid1(VALU_DEP_3)
	v_fmac_f32_e32 v9, 0x3e9e377a, v11
	v_fmac_f32_e32 v7, 0xbf737871, v17
	;; [unrolled: 1-line block ×3, first 2 shown]
	v_sub_f32_e32 v10, v64, v66
	s_delay_alu instid0(VALU_DEP_3) | instskip(NEXT) | instid1(VALU_DEP_1)
	v_fmac_f32_e32 v7, 0xbf167918, v18
	v_fmac_f32_e32 v7, 0x3e9e377a, v11
	v_sub_f32_e32 v11, v15, v68
	s_wait_loadcnt 0x0
	ds_store_2addr_b64 v19, v[4:5], v[8:9] offset1:3
	v_dual_sub_f32 v4, v93, v92 :: v_dual_sub_f32 v5, v76, v77
	v_dual_add_f32 v8, v92, v77 :: v_dual_sub_f32 v9, v69, v70
	ds_store_b64 v19, v[6:7] offset:96
	v_add_f32_e32 v6, v2, v13
	v_add_f32_e32 v5, v4, v5
	;; [unrolled: 1-line block ×3, first 2 shown]
	v_fma_f32 v0, -0.5, v8, v0
	v_sub_f32_e32 v8, v85, v84
	v_sub_f32_e32 v7, v14, v64
	s_delay_alu instid0(VALU_DEP_4) | instskip(NEXT) | instid1(VALU_DEP_4)
	v_fma_f32 v1, -0.5, v4, v1
	v_fmamk_f32 v4, v16, 0x3f737871, v0
	v_fmac_f32_e32 v0, 0xbf737871, v16
	scratch_load_b32 v16, off, off offset:304 th:TH_LOAD_LU ; 4-byte Folded Reload
	v_dual_add_f32 v8, v8, v9 :: v_dual_add_f32 v9, v3, v86
	v_fmac_f32_e32 v4, 0xbf167918, v12
	v_fmac_f32_e32 v0, 0x3f167918, v12
	v_sub_f32_e32 v12, v13, v65
	s_delay_alu instid0(VALU_DEP_3) | instskip(NEXT) | instid1(VALU_DEP_3)
	v_fmac_f32_e32 v4, 0x3e9e377a, v5
	v_fmac_f32_e32 v0, 0x3e9e377a, v5
	v_fmamk_f32 v5, v18, 0xbf737871, v1
	v_fmac_f32_e32 v1, 0x3f737871, v18
	s_delay_alu instid0(VALU_DEP_2) | instskip(NEXT) | instid1(VALU_DEP_2)
	v_fmac_f32_e32 v5, 0x3f167918, v17
	v_fmac_f32_e32 v1, 0xbf167918, v17
	s_delay_alu instid0(VALU_DEP_2) | instskip(NEXT) | instid1(VALU_DEP_2)
	v_fmac_f32_e32 v5, 0x3e9e377a, v8
	v_dual_fmac_f32 v1, 0x3e9e377a, v8 :: v_dual_sub_f32 v8, v86, v66
	ds_store_2addr_b64 v19, v[4:5], v[0:1] offset0:6 offset1:9
	v_dual_add_f32 v0, v15, v68 :: v_dual_add_f32 v1, v13, v65
	v_dual_sub_f32 v4, v68, v65 :: v_dual_add_f32 v5, v86, v66
	s_delay_alu instid0(VALU_DEP_2) | instskip(NEXT) | instid1(VALU_DEP_3)
	v_fma_f32 v0, -0.5, v0, v2
	v_fma_f32 v2, -0.5, v1, v2
	v_sub_f32_e32 v1, v15, v13
	s_delay_alu instid0(VALU_DEP_1) | instskip(SKIP_1) | instid1(VALU_DEP_2)
	v_dual_add_f32 v1, v1, v4 :: v_dual_fmamk_f32 v4, v7, 0x3f737871, v2
	v_fmac_f32_e32 v2, 0xbf737871, v7
	v_fmac_f32_e32 v4, 0xbf167918, v8
	s_delay_alu instid0(VALU_DEP_2) | instskip(NEXT) | instid1(VALU_DEP_2)
	v_fmac_f32_e32 v2, 0x3f167918, v8
	v_fmac_f32_e32 v4, 0x3e9e377a, v1
	s_delay_alu instid0(VALU_DEP_2) | instskip(NEXT) | instid1(VALU_DEP_1)
	v_dual_fmac_f32 v2, 0x3e9e377a, v1 :: v_dual_add_f32 v1, v14, v64
	v_fma_f32 v1, -0.5, v1, v3
	v_fmac_f32_e32 v3, -0.5, v5
	v_dual_sub_f32 v5, v14, v86 :: v_dual_mov_b32 v34, v207
	s_delay_alu instid0(VALU_DEP_1) | instskip(NEXT) | instid1(VALU_DEP_3)
	v_dual_mov_b32 v207, v91 :: v_dual_add_f32 v10, v5, v10
	v_fmamk_f32 v5, v11, 0xbf737871, v3
	v_fmac_f32_e32 v3, 0x3f737871, v11
	s_delay_alu instid0(VALU_DEP_2) | instskip(NEXT) | instid1(VALU_DEP_2)
	v_fmac_f32_e32 v5, 0x3f167918, v12
	v_fmac_f32_e32 v3, 0xbf167918, v12
	s_delay_alu instid0(VALU_DEP_2) | instskip(NEXT) | instid1(VALU_DEP_2)
	v_fmac_f32_e32 v5, 0x3e9e377a, v10
	v_fmac_f32_e32 v3, 0x3e9e377a, v10
	s_wait_loadcnt 0x0
	ds_store_2addr_b64 v16, v[4:5], v[2:3] offset0:6 offset1:9
	v_sub_f32_e32 v4, v13, v15
	v_dual_sub_f32 v5, v65, v68 :: v_dual_add_f32 v2, v6, v15
	v_add_f32_e32 v3, v9, v14
	v_sub_f32_e32 v6, v86, v14
	s_delay_alu instid0(VALU_DEP_3)
	v_dual_sub_f32 v9, v66, v64 :: v_dual_add_f32 v10, v4, v5
	v_fmamk_f32 v4, v8, 0xbf737871, v0
	v_dual_fmamk_f32 v5, v12, 0x3f737871, v1 :: v_dual_fmac_f32 v0, 0x3f737871, v8
	v_fmac_f32_e32 v1, 0xbf737871, v12
	v_add_f32_e32 v2, v2, v68
	v_dual_add_f32 v3, v3, v64 :: v_dual_add_f32 v6, v6, v9
	v_fmac_f32_e32 v4, 0xbf167918, v7
	v_fmac_f32_e32 v5, 0x3f167918, v11
	;; [unrolled: 1-line block ×3, first 2 shown]
	v_dual_fmac_f32 v1, 0xbf167918, v11 :: v_dual_add_f32 v2, v2, v65
	v_add_f32_e32 v3, v3, v66
	v_fmac_f32_e32 v4, 0x3e9e377a, v10
	v_fmac_f32_e32 v5, 0x3e9e377a, v6
	;; [unrolled: 1-line block ×4, first 2 shown]
	ds_store_2addr_b64 v16, v[2:3], v[4:5] offset1:3
	ds_store_b64 v16, v[0:1] offset:96
	global_wb scope:SCOPE_SE
	s_wait_dscnt 0x0
	s_barrier_signal -1
	s_barrier_wait -1
	global_inv scope:SCOPE_SE
	scratch_load_b128 v[6:9], off, off offset:548 th:TH_LOAD_LU ; 16-byte Folded Reload
	ds_load_2addr_b64 v[0:3], v90 offset0:110 offset1:235
	s_wait_dscnt 0x0
	v_mul_f32_e32 v102, v125, v3
	s_wait_loadcnt 0x0
	s_delay_alu instid0(VALU_DEP_1) | instskip(NEXT) | instid1(VALU_DEP_1)
	v_dual_fmac_f32 v102, v124, v2 :: v_dual_mul_f32 v193, v7, v1
	v_fmac_f32_e32 v193, v6, v0
	v_mul_f32_e32 v0, v7, v0
	s_delay_alu instid0(VALU_DEP_1)
	v_fma_f32 v192, v6, v1, -v0
	ds_load_2addr_b64 v[4:7], v89 offset0:92 offset1:217
	s_wait_dscnt 0x0
	v_mul_f32_e32 v0, v9, v4
	v_mul_f32_e32 v195, v9, v5
	;; [unrolled: 1-line block ×3, first 2 shown]
	s_delay_alu instid0(VALU_DEP_3) | instskip(NEXT) | instid1(VALU_DEP_3)
	v_fma_f32 v194, v8, v5, -v0
	v_dual_mul_f32 v0, v125, v2 :: v_dual_fmac_f32 v195, v8, v4
	s_delay_alu instid0(VALU_DEP_3) | instskip(SKIP_3) | instid1(VALU_DEP_1)
	v_fmac_f32_e32 v103, v126, v6
	ds_load_2addr_b64 v[8:11], v196 offset1:125
	v_fma_f32 v100, v124, v3, -v0
	v_dual_mul_f32 v0, v127, v6 :: v_dual_mov_b32 v127, v88
	v_fma_f32 v101, v126, v7, -v0
	ds_load_2addr_b64 v[0:3], v33 offset0:74 offset1:199
	ds_load_2addr_b64 v[4:7], v88 offset0:56 offset1:181
	s_wait_dscnt 0x1
	v_mul_f32_e32 v124, v117, v1
	s_wait_dscnt 0x0
	v_dual_mul_f32 v104, v121, v3 :: v_dual_mul_f32 v125, v119, v5
	v_mul_f32_e32 v106, v123, v7
	s_delay_alu instid0(VALU_DEP_3) | instskip(SKIP_1) | instid1(VALU_DEP_4)
	v_fmac_f32_e32 v124, v116, v0
	v_mul_f32_e32 v0, v117, v0
	v_dual_fmac_f32 v104, v120, v2 :: v_dual_fmac_f32 v125, v118, v4
	s_delay_alu instid0(VALU_DEP_3) | instskip(NEXT) | instid1(VALU_DEP_3)
	v_dual_fmac_f32 v106, v122, v6 :: v_dual_sub_f32 v31, v195, v124
	v_fma_f32 v116, v116, v1, -v0
	v_mul_f32_e32 v0, v119, v4
	s_delay_alu instid0(VALU_DEP_4) | instskip(NEXT) | instid1(VALU_DEP_3)
	v_dual_sub_f32 v30, v193, v125 :: v_dual_mov_b32 v119, v34
	v_sub_f32_e32 v29, v194, v116
	s_delay_alu instid0(VALU_DEP_3) | instskip(SKIP_2) | instid1(VALU_DEP_3)
	v_fma_f32 v117, v118, v5, -v0
	v_mul_f32_e32 v0, v121, v2
	v_mov_b32_e32 v118, v87
	v_sub_f32_e32 v28, v192, v117
	s_delay_alu instid0(VALU_DEP_3) | instskip(SKIP_1) | instid1(VALU_DEP_1)
	v_fma_f32 v105, v120, v3, -v0
	v_mul_f32_e32 v0, v123, v6
	v_fma_f32 v107, v122, v7, -v0
	ds_load_2addr_b64 v[0:3], v87 offset0:104 offset1:229
	ds_load_2addr_b64 v[4:7], v34 offset0:86 offset1:211
	s_wait_dscnt 0x1
	v_mul_f32_e32 v92, v157, v1
	v_mul_f32_e32 v70, v153, v3
	s_wait_dscnt 0x0
	v_mul_f32_e32 v94, v159, v5
	s_delay_alu instid0(VALU_DEP_3) | instskip(SKIP_2) | instid1(VALU_DEP_4)
	v_dual_mul_f32 v77, v155, v7 :: v_dual_fmac_f32 v92, v156, v0
	v_mul_f32_e32 v0, v157, v0
	v_fmac_f32_e32 v70, v152, v2
	v_fmac_f32_e32 v94, v158, v4
	s_delay_alu instid0(VALU_DEP_4) | instskip(NEXT) | instid1(VALU_DEP_4)
	v_fmac_f32_e32 v77, v154, v6
	v_fma_f32 v93, v156, v1, -v0
	v_mul_f32_e32 v0, v159, v4
	s_delay_alu instid0(VALU_DEP_1) | instskip(SKIP_1) | instid1(VALU_DEP_1)
	v_fma_f32 v95, v158, v5, -v0
	v_mul_f32_e32 v0, v153, v2
	v_fma_f32 v68, v152, v3, -v0
	v_mul_f32_e32 v0, v155, v6
	s_delay_alu instid0(VALU_DEP_1)
	v_fma_f32 v71, v154, v7, -v0
	ds_load_2addr_b64 v[0:3], v91 offset0:68 offset1:193
	ds_load_2addr_b64 v[4:7], v204 offset0:50 offset1:175
	s_wait_dscnt 0x1
	v_mul_f32_e32 v97, v149, v1
	s_wait_dscnt 0x0
	v_dual_mul_f32 v84, v145, v3 :: v_dual_mul_f32 v99, v151, v5
	s_delay_alu instid0(VALU_DEP_2) | instskip(SKIP_1) | instid1(VALU_DEP_3)
	v_dual_mul_f32 v86, v147, v7 :: v_dual_fmac_f32 v97, v148, v0
	v_mul_f32_e32 v0, v149, v0
	v_dual_fmac_f32 v84, v144, v2 :: v_dual_fmac_f32 v99, v150, v4
	s_delay_alu instid0(VALU_DEP_3) | instskip(NEXT) | instid1(VALU_DEP_3)
	v_fmac_f32_e32 v86, v146, v6
	v_fma_f32 v96, v148, v1, -v0
	v_mul_f32_e32 v0, v151, v4
	s_delay_alu instid0(VALU_DEP_1) | instskip(SKIP_1) | instid1(VALU_DEP_1)
	v_fma_f32 v98, v150, v5, -v0
	v_mul_f32_e32 v0, v145, v2
	v_fma_f32 v85, v144, v3, -v0
	v_mul_f32_e32 v0, v147, v6
	s_delay_alu instid0(VALU_DEP_1)
	v_fma_f32 v87, v146, v7, -v0
	ds_load_2addr_b64 v[0:3], v200 offset0:98 offset1:223
	ds_load_2addr_b64 v[4:7], v198 offset0:80 offset1:205
	s_wait_dscnt 0x1
	v_mul_f32_e32 v64, v141, v1
	s_wait_dscnt 0x0
	v_dual_mul_f32 v13, v137, v3 :: v_dual_mul_f32 v66, v143, v5
	s_delay_alu instid0(VALU_DEP_2) | instskip(NEXT) | instid1(VALU_DEP_2)
	v_dual_mul_f32 v15, v139, v7 :: v_dual_fmac_f32 v64, v140, v0
	v_dual_mul_f32 v0, v141, v0 :: v_dual_fmac_f32 v13, v136, v2
	s_delay_alu instid0(VALU_DEP_3) | instskip(NEXT) | instid1(VALU_DEP_3)
	v_fmac_f32_e32 v66, v142, v4
	v_fmac_f32_e32 v15, v138, v6
	s_delay_alu instid0(VALU_DEP_3) | instskip(SKIP_1) | instid1(VALU_DEP_1)
	v_fma_f32 v65, v140, v1, -v0
	v_mul_f32_e32 v0, v143, v4
	v_fma_f32 v67, v142, v5, -v0
	v_mul_f32_e32 v0, v137, v2
	s_delay_alu instid0(VALU_DEP_1) | instskip(SKIP_1) | instid1(VALU_DEP_1)
	v_fma_f32 v12, v136, v3, -v0
	v_mul_f32_e32 v0, v139, v6
	v_fma_f32 v14, v138, v7, -v0
	ds_load_2addr_b64 v[0:3], v220 offset0:62 offset1:187
	ds_load_2addr_b64 v[4:7], v197 offset0:44 offset1:169
	s_wait_dscnt 0x1
	v_mul_f32_e32 v76, v133, v1
	s_wait_dscnt 0x0
	v_dual_mul_f32 v79, v135, v5 :: v_dual_mul_f32 v16, v129, v3
	v_mul_f32_e32 v18, v131, v7
	s_delay_alu instid0(VALU_DEP_3) | instskip(SKIP_1) | instid1(VALU_DEP_4)
	v_fmac_f32_e32 v76, v132, v0
	v_mul_f32_e32 v0, v133, v0
	v_dual_fmac_f32 v79, v134, v4 :: v_dual_fmac_f32 v16, v128, v2
	s_delay_alu instid0(VALU_DEP_4) | instskip(NEXT) | instid1(VALU_DEP_3)
	v_fmac_f32_e32 v18, v130, v6
	v_fma_f32 v69, v132, v1, -v0
	v_mul_f32_e32 v0, v135, v4
	v_sub_f32_e32 v1, v125, v124
	s_delay_alu instid0(VALU_DEP_2) | instskip(SKIP_1) | instid1(VALU_DEP_1)
	v_fma_f32 v78, v134, v5, -v0
	v_mul_f32_e32 v0, v129, v2
	v_fma_f32 v17, v128, v3, -v0
	v_mul_f32_e32 v0, v131, v6
	s_delay_alu instid0(VALU_DEP_1) | instskip(SKIP_1) | instid1(VALU_DEP_1)
	v_fma_f32 v19, v130, v7, -v0
	v_sub_f32_e32 v0, v193, v195
	v_add_f32_e32 v26, v0, v1
	v_dual_add_f32 v0, v8, v193 :: v_dual_add_f32 v1, v9, v192
	s_delay_alu instid0(VALU_DEP_1) | instskip(NEXT) | instid1(VALU_DEP_1)
	v_dual_add_f32 v0, v0, v195 :: v_dual_add_f32 v1, v1, v194
	v_add_f32_e32 v0, v0, v124
	s_delay_alu instid0(VALU_DEP_1) | instskip(NEXT) | instid1(VALU_DEP_1)
	v_dual_add_f32 v1, v1, v116 :: v_dual_add_f32 v20, v0, v125
	v_dual_add_f32 v21, v1, v117 :: v_dual_add_f32 v0, v195, v124
	v_add_f32_e32 v1, v194, v116
	s_delay_alu instid0(VALU_DEP_2) | instskip(NEXT) | instid1(VALU_DEP_2)
	v_fma_f32 v22, -0.5, v0, v8
	v_fma_f32 v23, -0.5, v1, v9
	v_dual_sub_f32 v0, v192, v194 :: v_dual_sub_f32 v1, v117, v116
	s_delay_alu instid0(VALU_DEP_3) | instskip(NEXT) | instid1(VALU_DEP_3)
	v_fmamk_f32 v24, v28, 0xbf737871, v22
	v_dual_fmamk_f32 v25, v30, 0x3f737871, v23 :: v_dual_fmac_f32 v22, 0x3f737871, v28
	s_delay_alu instid0(VALU_DEP_3)
	v_add_f32_e32 v27, v0, v1
	ds_load_2addr_b64 v[4:7], v208 offset0:122 offset1:247
	ds_load_2addr_b64 v[0:3], v199 offset0:116 offset1:241
	global_wb scope:SCOPE_SE
	s_wait_dscnt 0x0
	s_barrier_signal -1
	s_barrier_wait -1
	global_inv scope:SCOPE_SE
	scratch_load_b32 v32, off, off offset:400 th:TH_LOAD_LU ; 4-byte Folded Reload
	v_fmac_f32_e32 v24, 0xbf167918, v29
	v_dual_fmac_f32 v25, 0x3f167918, v31 :: v_dual_fmac_f32 v22, 0x3f167918, v29
	v_fmac_f32_e32 v23, 0xbf737871, v30
	s_delay_alu instid0(VALU_DEP_2) | instskip(NEXT) | instid1(VALU_DEP_3)
	v_dual_fmac_f32 v24, 0x3e9e377a, v26 :: v_dual_fmac_f32 v25, 0x3e9e377a, v27
	v_fmac_f32_e32 v22, 0x3e9e377a, v26
	s_delay_alu instid0(VALU_DEP_3) | instskip(SKIP_1) | instid1(VALU_DEP_2)
	v_fmac_f32_e32 v23, 0xbf167918, v31
	v_sub_f32_e32 v26, v105, v107
	v_fmac_f32_e32 v23, 0x3e9e377a, v27
	v_sub_f32_e32 v27, v103, v104
	s_wait_loadcnt 0x0
	ds_store_2addr_b64 v32, v[20:21], v[24:25] offset1:15
	v_sub_f32_e32 v20, v195, v193
	v_sub_f32_e32 v21, v124, v125
	v_add_f32_e32 v24, v193, v125
	v_sub_f32_e32 v25, v116, v117
	ds_store_b64 v32, v[22:23] offset:480
	v_dual_add_f32 v22, v10, v102 :: v_dual_add_f32 v21, v20, v21
	v_add_f32_e32 v20, v192, v117
	v_fma_f32 v8, -0.5, v24, v8
	v_dual_sub_f32 v24, v194, v192 :: v_dual_sub_f32 v23, v101, v105
	s_delay_alu instid0(VALU_DEP_3) | instskip(NEXT) | instid1(VALU_DEP_3)
	v_fma_f32 v9, -0.5, v20, v9
	v_fmamk_f32 v20, v29, 0x3f737871, v8
	v_fmac_f32_e32 v8, 0xbf737871, v29
	scratch_load_b32 v29, off, off offset:432 th:TH_LOAD_LU ; 4-byte Folded Reload
	v_dual_add_f32 v24, v24, v25 :: v_dual_add_f32 v25, v11, v100
	v_fmac_f32_e32 v20, 0xbf167918, v28
	v_fmac_f32_e32 v8, 0x3f167918, v28
	v_sub_f32_e32 v28, v102, v106
	s_delay_alu instid0(VALU_DEP_3) | instskip(NEXT) | instid1(VALU_DEP_3)
	v_fmac_f32_e32 v20, 0x3e9e377a, v21
	v_fmac_f32_e32 v8, 0x3e9e377a, v21
	v_fmamk_f32 v21, v31, 0xbf737871, v9
	v_fmac_f32_e32 v9, 0x3f737871, v31
	s_delay_alu instid0(VALU_DEP_2) | instskip(NEXT) | instid1(VALU_DEP_2)
	v_fmac_f32_e32 v21, 0x3f167918, v30
	v_fmac_f32_e32 v9, 0xbf167918, v30
	s_delay_alu instid0(VALU_DEP_2) | instskip(NEXT) | instid1(VALU_DEP_2)
	v_fmac_f32_e32 v21, 0x3e9e377a, v24
	v_dual_fmac_f32 v9, 0x3e9e377a, v24 :: v_dual_sub_f32 v24, v100, v107
	ds_store_2addr_b64 v32, v[20:21], v[8:9] offset0:30 offset1:45
	v_dual_add_f32 v8, v103, v104 :: v_dual_add_f32 v9, v102, v106
	v_sub_f32_e32 v20, v104, v106
	v_add_f32_e32 v21, v100, v107
	s_delay_alu instid0(VALU_DEP_3) | instskip(NEXT) | instid1(VALU_DEP_4)
	v_fma_f32 v8, -0.5, v8, v10
	v_fma_f32 v10, -0.5, v9, v10
	v_sub_f32_e32 v9, v103, v102
	s_delay_alu instid0(VALU_DEP_1) | instskip(SKIP_1) | instid1(VALU_DEP_2)
	v_dual_add_f32 v9, v9, v20 :: v_dual_fmamk_f32 v20, v23, 0x3f737871, v10
	v_fmac_f32_e32 v10, 0xbf737871, v23
	v_fmac_f32_e32 v20, 0xbf167918, v24
	s_delay_alu instid0(VALU_DEP_2) | instskip(NEXT) | instid1(VALU_DEP_2)
	v_fmac_f32_e32 v10, 0x3f167918, v24
	v_fmac_f32_e32 v20, 0x3e9e377a, v9
	s_delay_alu instid0(VALU_DEP_2) | instskip(SKIP_1) | instid1(VALU_DEP_1)
	v_fmac_f32_e32 v10, 0x3e9e377a, v9
	v_add_f32_e32 v9, v101, v105
	v_fma_f32 v9, -0.5, v9, v11
	v_fmac_f32_e32 v11, -0.5, v21
	v_sub_f32_e32 v21, v101, v100
	s_delay_alu instid0(VALU_DEP_1) | instskip(SKIP_1) | instid1(VALU_DEP_2)
	v_dual_add_f32 v26, v21, v26 :: v_dual_fmamk_f32 v21, v27, 0xbf737871, v11
	v_fmac_f32_e32 v11, 0x3f737871, v27
	v_fmac_f32_e32 v21, 0x3f167918, v28
	s_delay_alu instid0(VALU_DEP_2) | instskip(NEXT) | instid1(VALU_DEP_2)
	v_fmac_f32_e32 v11, 0xbf167918, v28
	v_fmac_f32_e32 v21, 0x3e9e377a, v26
	s_delay_alu instid0(VALU_DEP_2)
	v_fmac_f32_e32 v11, 0x3e9e377a, v26
	s_wait_loadcnt 0x0
	ds_store_2addr_b64 v29, v[20:21], v[10:11] offset0:30 offset1:45
	v_dual_add_f32 v11, v25, v101 :: v_dual_sub_f32 v20, v102, v103
	v_dual_sub_f32 v25, v107, v105 :: v_dual_add_f32 v10, v22, v103
	v_sub_f32_e32 v22, v100, v101
	s_delay_alu instid0(VALU_DEP_3) | instskip(SKIP_3) | instid1(VALU_DEP_4)
	v_add_f32_e32 v11, v11, v105
	v_mov_b32_e32 v105, v89
	v_sub_f32_e32 v21, v106, v104
	v_add_f32_e32 v10, v10, v104
	v_dual_add_f32 v22, v22, v25 :: v_dual_add_f32 v11, v11, v107
	s_delay_alu instid0(VALU_DEP_3) | instskip(SKIP_3) | instid1(VALU_DEP_3)
	v_dual_sub_f32 v25, v95, v96 :: v_dual_add_f32 v26, v20, v21
	v_fmamk_f32 v20, v24, 0xbf737871, v8
	v_dual_fmamk_f32 v21, v28, 0x3f737871, v9 :: v_dual_fmac_f32 v8, 0x3f737871, v24
	v_dual_fmac_f32 v9, 0xbf737871, v28 :: v_dual_add_f32 v10, v10, v106
	v_fmac_f32_e32 v20, 0xbf167918, v23
	s_delay_alu instid0(VALU_DEP_3) | instskip(NEXT) | instid1(VALU_DEP_4)
	v_fmac_f32_e32 v21, 0x3f167918, v27
	v_fmac_f32_e32 v8, 0x3f167918, v23
	s_delay_alu instid0(VALU_DEP_4) | instskip(NEXT) | instid1(VALU_DEP_4)
	v_dual_fmac_f32 v9, 0xbf167918, v27 :: v_dual_sub_f32 v24, v93, v98
	v_fmac_f32_e32 v20, 0x3e9e377a, v26
	s_delay_alu instid0(VALU_DEP_4) | instskip(NEXT) | instid1(VALU_DEP_4)
	v_fmac_f32_e32 v21, 0x3e9e377a, v22
	v_fmac_f32_e32 v8, 0x3e9e377a, v26
	s_delay_alu instid0(VALU_DEP_4)
	v_dual_fmac_f32 v9, 0x3e9e377a, v22 :: v_dual_sub_f32 v26, v92, v99
	v_sub_f32_e32 v27, v94, v97
	ds_store_2addr_b64 v29, v[10:11], v[20:21] offset1:15
	v_add_f32_e32 v10, v94, v97
	ds_store_b64 v29, v[8:9] offset:480
	scratch_load_b32 v29, off, off offset:428 th:TH_LOAD_LU ; 4-byte Folded Reload
	v_dual_sub_f32 v8, v92, v94 :: v_dual_sub_f32 v9, v99, v97
	v_add_f32_e32 v11, v95, v96
	v_fma_f32 v10, -0.5, v10, v4
	v_dual_sub_f32 v20, v93, v95 :: v_dual_sub_f32 v21, v98, v96
	s_delay_alu instid0(VALU_DEP_4) | instskip(SKIP_2) | instid1(VALU_DEP_4)
	v_add_f32_e32 v22, v8, v9
	v_dual_add_f32 v8, v4, v92 :: v_dual_add_f32 v9, v5, v93
	v_fma_f32 v11, -0.5, v11, v5
	v_add_f32_e32 v23, v20, v21
	v_fmamk_f32 v20, v24, 0xbf737871, v10
	s_delay_alu instid0(VALU_DEP_4) | instskip(NEXT) | instid1(VALU_DEP_4)
	v_dual_add_f32 v8, v8, v94 :: v_dual_add_f32 v9, v9, v95
	v_dual_fmamk_f32 v21, v26, 0x3f737871, v11 :: v_dual_sub_f32 v28, v96, v98
	s_delay_alu instid0(VALU_DEP_3) | instskip(NEXT) | instid1(VALU_DEP_3)
	v_fmac_f32_e32 v20, 0xbf167918, v25
	v_dual_add_f32 v8, v8, v97 :: v_dual_add_f32 v9, v9, v96
	s_delay_alu instid0(VALU_DEP_3) | instskip(SKIP_1) | instid1(VALU_DEP_4)
	v_fmac_f32_e32 v21, 0x3f167918, v27
	v_fmac_f32_e32 v10, 0x3f737871, v24
	;; [unrolled: 1-line block ×3, first 2 shown]
	s_delay_alu instid0(VALU_DEP_4) | instskip(NEXT) | instid1(VALU_DEP_4)
	v_dual_add_f32 v8, v8, v99 :: v_dual_add_f32 v9, v9, v98
	v_fmac_f32_e32 v21, 0x3e9e377a, v23
	s_delay_alu instid0(VALU_DEP_4) | instskip(SKIP_1) | instid1(VALU_DEP_2)
	v_fmac_f32_e32 v10, 0x3f167918, v25
	v_dual_fmac_f32 v11, 0xbf737871, v26 :: v_dual_mov_b32 v104, v90
	v_fmac_f32_e32 v10, 0x3e9e377a, v22
	s_delay_alu instid0(VALU_DEP_2) | instskip(SKIP_1) | instid1(VALU_DEP_2)
	v_fmac_f32_e32 v11, 0xbf167918, v27
	v_sub_f32_e32 v22, v68, v87
	v_fmac_f32_e32 v11, 0x3e9e377a, v23
	v_sub_f32_e32 v23, v77, v84
	s_wait_loadcnt 0x0
	ds_store_2addr_b64 v29, v[8:9], v[20:21] offset1:15
	v_dual_sub_f32 v8, v94, v92 :: v_dual_sub_f32 v9, v97, v99
	v_dual_add_f32 v20, v92, v99 :: v_dual_add_f32 v21, v93, v98
	ds_store_b64 v29, v[10:11] offset:480
	v_dual_add_f32 v10, v6, v70 :: v_dual_add_f32 v9, v8, v9
	v_sub_f32_e32 v8, v95, v93
	v_fma_f32 v4, -0.5, v20, v4
	v_fma_f32 v5, -0.5, v21, v5
	v_add_f32_e32 v11, v7, v68
	s_delay_alu instid0(VALU_DEP_4) | instskip(NEXT) | instid1(VALU_DEP_4)
	v_dual_sub_f32 v21, v71, v85 :: v_dual_add_f32 v20, v8, v28
	v_fmamk_f32 v8, v25, 0x3f737871, v4
	v_fmac_f32_e32 v4, 0xbf737871, v25
	scratch_load_b32 v25, off, off offset:484 th:TH_LOAD_LU ; 4-byte Folded Reload
	v_fmac_f32_e32 v8, 0xbf167918, v24
	v_fmac_f32_e32 v4, 0x3f167918, v24
	v_sub_f32_e32 v24, v70, v86
	s_delay_alu instid0(VALU_DEP_3) | instskip(NEXT) | instid1(VALU_DEP_3)
	v_fmac_f32_e32 v8, 0x3e9e377a, v9
	v_fmac_f32_e32 v4, 0x3e9e377a, v9
	v_fmamk_f32 v9, v27, 0xbf737871, v5
	v_fmac_f32_e32 v5, 0x3f737871, v27
	s_delay_alu instid0(VALU_DEP_2) | instskip(NEXT) | instid1(VALU_DEP_2)
	v_fmac_f32_e32 v9, 0x3f167918, v26
	v_fmac_f32_e32 v5, 0xbf167918, v26
	s_delay_alu instid0(VALU_DEP_2) | instskip(NEXT) | instid1(VALU_DEP_2)
	v_fmac_f32_e32 v9, 0x3e9e377a, v20
	v_dual_fmac_f32 v5, 0x3e9e377a, v20 :: v_dual_sub_f32 v20, v85, v87
	ds_store_2addr_b64 v29, v[8:9], v[4:5] offset0:30 offset1:45
	v_dual_add_f32 v4, v77, v84 :: v_dual_add_f32 v5, v70, v86
	v_sub_f32_e32 v8, v84, v86
	s_delay_alu instid0(VALU_DEP_2) | instskip(NEXT) | instid1(VALU_DEP_3)
	v_fma_f32 v4, -0.5, v4, v6
	v_fma_f32 v6, -0.5, v5, v6
	v_sub_f32_e32 v5, v77, v70
	s_delay_alu instid0(VALU_DEP_1) | instskip(SKIP_1) | instid1(VALU_DEP_1)
	v_add_f32_e32 v9, v5, v8
	v_dual_add_f32 v5, v71, v85 :: v_dual_add_f32 v8, v68, v87
	v_fma_f32 v5, -0.5, v5, v7
	s_delay_alu instid0(VALU_DEP_2) | instskip(SKIP_1) | instid1(VALU_DEP_1)
	v_fmac_f32_e32 v7, -0.5, v8
	v_sub_f32_e32 v8, v71, v68
	v_add_f32_e32 v20, v8, v20
	v_fmamk_f32 v8, v21, 0x3f737871, v6
	v_fmac_f32_e32 v6, 0xbf737871, v21
	s_delay_alu instid0(VALU_DEP_2) | instskip(NEXT) | instid1(VALU_DEP_2)
	v_fmac_f32_e32 v8, 0xbf167918, v22
	v_fmac_f32_e32 v6, 0x3f167918, v22
	s_delay_alu instid0(VALU_DEP_2) | instskip(NEXT) | instid1(VALU_DEP_2)
	v_fmac_f32_e32 v8, 0x3e9e377a, v9
	v_fmac_f32_e32 v6, 0x3e9e377a, v9
	v_fmamk_f32 v9, v23, 0xbf737871, v7
	v_fmac_f32_e32 v7, 0x3f737871, v23
	s_delay_alu instid0(VALU_DEP_2) | instskip(NEXT) | instid1(VALU_DEP_2)
	v_fmac_f32_e32 v9, 0x3f167918, v24
	v_fmac_f32_e32 v7, 0xbf167918, v24
	s_delay_alu instid0(VALU_DEP_2) | instskip(NEXT) | instid1(VALU_DEP_2)
	v_fmac_f32_e32 v9, 0x3e9e377a, v20
	v_fmac_f32_e32 v7, 0x3e9e377a, v20
	s_wait_loadcnt 0x0
	ds_store_2addr_b64 v25, v[8:9], v[6:7] offset0:30 offset1:45
	v_sub_f32_e32 v8, v70, v77
	v_sub_f32_e32 v9, v86, v84
	v_dual_add_f32 v6, v10, v77 :: v_dual_add_f32 v7, v11, v71
	v_dual_sub_f32 v10, v68, v71 :: v_dual_sub_f32 v11, v87, v85
	s_delay_alu instid0(VALU_DEP_3)
	v_add_f32_e32 v20, v8, v9
	v_fmamk_f32 v8, v22, 0xbf737871, v4
	v_dual_fmamk_f32 v9, v24, 0x3f737871, v5 :: v_dual_fmac_f32 v4, 0x3f737871, v22
	v_fmac_f32_e32 v5, 0xbf737871, v24
	v_dual_add_f32 v6, v6, v84 :: v_dual_add_f32 v7, v7, v85
	v_add_f32_e32 v10, v10, v11
	v_fmac_f32_e32 v8, 0xbf167918, v21
	v_dual_fmac_f32 v9, 0x3f167918, v23 :: v_dual_fmac_f32 v4, 0x3f167918, v21
	s_delay_alu instid0(VALU_DEP_4) | instskip(NEXT) | instid1(VALU_DEP_3)
	v_dual_fmac_f32 v5, 0xbf167918, v23 :: v_dual_add_f32 v6, v6, v86
	v_dual_add_f32 v7, v7, v87 :: v_dual_fmac_f32 v8, 0x3e9e377a, v20
	s_delay_alu instid0(VALU_DEP_3) | instskip(NEXT) | instid1(VALU_DEP_3)
	v_dual_fmac_f32 v9, 0x3e9e377a, v10 :: v_dual_fmac_f32 v4, 0x3e9e377a, v20
	v_fmac_f32_e32 v5, 0x3e9e377a, v10
	v_sub_f32_e32 v20, v65, v78
	v_sub_f32_e32 v22, v64, v79
	ds_store_2addr_b64 v25, v[6:7], v[8:9] offset1:15
	v_add_f32_e32 v6, v66, v76
	ds_store_b64 v25, v[4:5] offset:480
	scratch_load_b32 v25, off, off offset:488 th:TH_LOAD_LU ; 4-byte Folded Reload
	v_dual_sub_f32 v4, v64, v66 :: v_dual_sub_f32 v5, v79, v76
	v_add_f32_e32 v7, v67, v69
	v_fma_f32 v6, -0.5, v6, v0
	v_dual_sub_f32 v8, v65, v67 :: v_dual_sub_f32 v9, v78, v69
	s_delay_alu instid0(VALU_DEP_4) | instskip(SKIP_2) | instid1(VALU_DEP_4)
	v_add_f32_e32 v10, v4, v5
	v_dual_add_f32 v4, v0, v64 :: v_dual_add_f32 v5, v1, v65
	v_fma_f32 v7, -0.5, v7, v1
	v_add_f32_e32 v11, v8, v9
	s_delay_alu instid0(VALU_DEP_3) | instskip(NEXT) | instid1(VALU_DEP_4)
	v_dual_sub_f32 v21, v67, v69 :: v_dual_add_f32 v4, v4, v66
	v_dual_add_f32 v5, v5, v67 :: v_dual_fmamk_f32 v8, v20, 0xbf737871, v6
	s_delay_alu instid0(VALU_DEP_4) | instskip(SKIP_1) | instid1(VALU_DEP_3)
	v_fmamk_f32 v9, v22, 0x3f737871, v7
	v_sub_f32_e32 v23, v66, v76
	v_dual_add_f32 v4, v4, v76 :: v_dual_add_f32 v5, v5, v69
	s_delay_alu instid0(VALU_DEP_4) | instskip(NEXT) | instid1(VALU_DEP_3)
	v_fmac_f32_e32 v8, 0xbf167918, v21
	v_dual_sub_f32 v24, v69, v78 :: v_dual_fmac_f32 v9, 0x3f167918, v23
	s_delay_alu instid0(VALU_DEP_3) | instskip(NEXT) | instid1(VALU_DEP_3)
	v_dual_add_f32 v4, v4, v79 :: v_dual_add_f32 v5, v5, v78
	v_fmac_f32_e32 v8, 0x3e9e377a, v10
	v_fmac_f32_e32 v6, 0x3f737871, v20
	s_delay_alu instid0(VALU_DEP_4) | instskip(SKIP_1) | instid1(VALU_DEP_3)
	v_fmac_f32_e32 v9, 0x3e9e377a, v11
	v_fmac_f32_e32 v7, 0xbf737871, v22
	;; [unrolled: 1-line block ×3, first 2 shown]
	s_delay_alu instid0(VALU_DEP_2) | instskip(NEXT) | instid1(VALU_DEP_2)
	v_fmac_f32_e32 v7, 0xbf167918, v23
	v_fmac_f32_e32 v6, 0x3e9e377a, v10
	v_sub_f32_e32 v10, v12, v19
	s_delay_alu instid0(VALU_DEP_3)
	v_fmac_f32_e32 v7, 0x3e9e377a, v11
	v_sub_f32_e32 v11, v15, v16
	s_wait_loadcnt 0x0
	ds_store_2addr_b64 v25, v[4:5], v[8:9] offset1:15
	v_dual_sub_f32 v4, v66, v64 :: v_dual_sub_f32 v5, v76, v79
	v_dual_add_f32 v8, v64, v79 :: v_dual_add_f32 v9, v65, v78
	ds_store_b64 v25, v[6:7] offset:480
	v_add_f32_e32 v6, v2, v13
	v_add_f32_e32 v5, v4, v5
	v_sub_f32_e32 v4, v67, v65
	v_fma_f32 v0, -0.5, v8, v0
	v_fma_f32 v1, -0.5, v9, v1
	v_add_f32_e32 v7, v3, v12
	s_delay_alu instid0(VALU_DEP_4) | instskip(NEXT) | instid1(VALU_DEP_4)
	v_dual_sub_f32 v9, v14, v17 :: v_dual_add_f32 v8, v4, v24
	v_fmamk_f32 v4, v21, 0x3f737871, v0
	v_fmac_f32_e32 v0, 0xbf737871, v21
	scratch_load_b32 v21, off, off offset:580 th:TH_LOAD_LU ; 4-byte Folded Reload
	v_fmac_f32_e32 v4, 0xbf167918, v20
	v_fmac_f32_e32 v0, 0x3f167918, v20
	v_sub_f32_e32 v20, v13, v18
	s_delay_alu instid0(VALU_DEP_3) | instskip(NEXT) | instid1(VALU_DEP_3)
	v_fmac_f32_e32 v4, 0x3e9e377a, v5
	v_fmac_f32_e32 v0, 0x3e9e377a, v5
	v_fmamk_f32 v5, v23, 0xbf737871, v1
	v_fmac_f32_e32 v1, 0x3f737871, v23
	s_delay_alu instid0(VALU_DEP_2) | instskip(NEXT) | instid1(VALU_DEP_2)
	v_fmac_f32_e32 v5, 0x3f167918, v22
	v_fmac_f32_e32 v1, 0xbf167918, v22
	s_delay_alu instid0(VALU_DEP_2) | instskip(NEXT) | instid1(VALU_DEP_2)
	v_fmac_f32_e32 v5, 0x3e9e377a, v8
	v_dual_fmac_f32 v1, 0x3e9e377a, v8 :: v_dual_sub_f32 v8, v17, v19
	ds_store_2addr_b64 v25, v[4:5], v[0:1] offset0:30 offset1:45
	v_dual_add_f32 v0, v15, v16 :: v_dual_add_f32 v1, v13, v18
	v_sub_f32_e32 v4, v16, v18
	s_delay_alu instid0(VALU_DEP_2) | instskip(NEXT) | instid1(VALU_DEP_3)
	v_fma_f32 v0, -0.5, v0, v2
	v_fma_f32 v2, -0.5, v1, v2
	v_sub_f32_e32 v1, v15, v13
	s_delay_alu instid0(VALU_DEP_1) | instskip(SKIP_1) | instid1(VALU_DEP_1)
	v_add_f32_e32 v5, v1, v4
	v_dual_add_f32 v1, v14, v17 :: v_dual_add_f32 v4, v12, v19
	v_fma_f32 v1, -0.5, v1, v3
	s_delay_alu instid0(VALU_DEP_2) | instskip(SKIP_1) | instid1(VALU_DEP_1)
	v_fmac_f32_e32 v3, -0.5, v4
	v_sub_f32_e32 v4, v14, v12
	v_add_f32_e32 v8, v4, v8
	v_fmamk_f32 v4, v9, 0x3f737871, v2
	v_fmac_f32_e32 v2, 0xbf737871, v9
	s_delay_alu instid0(VALU_DEP_2) | instskip(NEXT) | instid1(VALU_DEP_2)
	v_fmac_f32_e32 v4, 0xbf167918, v10
	v_fmac_f32_e32 v2, 0x3f167918, v10
	s_delay_alu instid0(VALU_DEP_2) | instskip(NEXT) | instid1(VALU_DEP_2)
	v_fmac_f32_e32 v4, 0x3e9e377a, v5
	v_fmac_f32_e32 v2, 0x3e9e377a, v5
	v_fmamk_f32 v5, v11, 0xbf737871, v3
	v_fmac_f32_e32 v3, 0x3f737871, v11
	s_delay_alu instid0(VALU_DEP_2) | instskip(NEXT) | instid1(VALU_DEP_2)
	v_fmac_f32_e32 v5, 0x3f167918, v20
	v_fmac_f32_e32 v3, 0xbf167918, v20
	s_delay_alu instid0(VALU_DEP_2) | instskip(NEXT) | instid1(VALU_DEP_2)
	v_fmac_f32_e32 v5, 0x3e9e377a, v8
	v_fmac_f32_e32 v3, 0x3e9e377a, v8
	s_wait_loadcnt 0x0
	ds_store_2addr_b64 v21, v[4:5], v[2:3] offset0:30 offset1:45
	v_dual_sub_f32 v4, v13, v15 :: v_dual_sub_f32 v5, v18, v16
	v_dual_add_f32 v2, v6, v15 :: v_dual_add_f32 v3, v7, v14
	v_dual_sub_f32 v6, v12, v14 :: v_dual_sub_f32 v7, v19, v17
	s_delay_alu instid0(VALU_DEP_3)
	v_add_f32_e32 v8, v4, v5
	v_fmamk_f32 v4, v10, 0xbf737871, v0
	v_dual_fmamk_f32 v5, v20, 0x3f737871, v1 :: v_dual_fmac_f32 v0, 0x3f737871, v10
	v_fmac_f32_e32 v1, 0xbf737871, v20
	v_dual_add_f32 v2, v2, v16 :: v_dual_add_f32 v3, v3, v17
	v_add_f32_e32 v6, v6, v7
	v_fmac_f32_e32 v4, 0xbf167918, v9
	v_dual_fmac_f32 v5, 0x3f167918, v11 :: v_dual_fmac_f32 v0, 0x3f167918, v9
	s_delay_alu instid0(VALU_DEP_4) | instskip(NEXT) | instid1(VALU_DEP_3)
	v_dual_fmac_f32 v1, 0xbf167918, v11 :: v_dual_add_f32 v2, v2, v18
	v_dual_add_f32 v3, v3, v19 :: v_dual_fmac_f32 v4, 0x3e9e377a, v8
	s_delay_alu instid0(VALU_DEP_3) | instskip(NEXT) | instid1(VALU_DEP_3)
	v_dual_fmac_f32 v5, 0x3e9e377a, v6 :: v_dual_fmac_f32 v0, 0x3e9e377a, v8
	v_fmac_f32_e32 v1, 0x3e9e377a, v6
	ds_store_2addr_b64 v21, v[2:3], v[4:5] offset1:15
	ds_store_b64 v21, v[0:1] offset:480
	global_wb scope:SCOPE_SE
	s_wait_dscnt 0x0
	s_barrier_signal -1
	s_barrier_wait -1
	global_inv scope:SCOPE_SE
	scratch_load_b64 v[4:5], off, off offset:524 th:TH_LOAD_LU ; 8-byte Folded Reload
	ds_load_2addr_b64 v[0:3], v197 offset0:44 offset1:169
	s_wait_loadcnt_dscnt 0x0
	v_mul_f32_e32 v64, v5, v1
	s_delay_alu instid0(VALU_DEP_1) | instskip(SKIP_1) | instid1(VALU_DEP_1)
	v_fmac_f32_e32 v64, v4, v0
	v_mul_f32_e32 v0, v5, v0
	v_fma_f32 v65, v4, v1, -v0
	scratch_load_b64 v[0:1], off, off offset:516 th:TH_LOAD_LU ; 8-byte Folded Reload
	s_wait_loadcnt 0x0
	v_mul_f32_e32 v10, v1, v3
	v_dual_mov_b32 v5, v1 :: v_dual_mov_b32 v4, v0
	s_delay_alu instid0(VALU_DEP_2) | instskip(NEXT) | instid1(VALU_DEP_2)
	v_fmac_f32_e32 v10, v0, v2
	v_mul_f32_e32 v0, v5, v2
	s_delay_alu instid0(VALU_DEP_1) | instskip(SKIP_4) | instid1(VALU_DEP_1)
	v_fma_f32 v11, v4, v3, -v0
	scratch_load_b64 v[4:5], off, off offset:492 th:TH_LOAD_LU ; 8-byte Folded Reload
	ds_load_2addr_b64 v[0:3], v204 offset0:50 offset1:175
	s_wait_dscnt 0x0
	v_mul_f32_e32 v15, v115, v1
	v_fmac_f32_e32 v15, v114, v0
	v_mul_f32_e32 v0, v115, v0
	s_delay_alu instid0(VALU_DEP_1) | instskip(SKIP_2) | instid1(VALU_DEP_1)
	v_fma_f32 v14, v114, v1, -v0
	s_wait_loadcnt 0x0
	v_mul_f32_e32 v77, v5, v3
	v_fmac_f32_e32 v77, v4, v2
	v_mul_f32_e32 v2, v5, v2
	s_delay_alu instid0(VALU_DEP_1)
	v_fma_f32 v76, v4, v3, -v2
	scratch_load_b128 v[4:7], off, off offset:584 th:TH_LOAD_LU ; 16-byte Folded Reload
	ds_load_2addr_b64 v[0:3], v220 offset0:62 offset1:187
	s_wait_dscnt 0x0
	v_mul_f32_e32 v13, v113, v3
	v_mul_f32_e32 v67, v216, v1
	s_delay_alu instid0(VALU_DEP_2) | instskip(NEXT) | instid1(VALU_DEP_2)
	v_fmac_f32_e32 v13, v112, v2
	v_dual_mul_f32 v2, v113, v2 :: v_dual_fmac_f32 v67, v215, v0
	v_mul_f32_e32 v0, v216, v0
	s_delay_alu instid0(VALU_DEP_2) | instskip(NEXT) | instid1(VALU_DEP_2)
	v_fma_f32 v12, v112, v3, -v2
	v_fma_f32 v66, v215, v1, -v0
	ds_load_2addr_b64 v[0:3], v88 offset0:56 offset1:181
	s_wait_dscnt 0x0
	v_dual_mul_f32 v69, v218, v3 :: v_dual_mul_f32 v78, v236, v1
	s_delay_alu instid0(VALU_DEP_1) | instskip(SKIP_1) | instid1(VALU_DEP_3)
	v_fmac_f32_e32 v69, v217, v2
	v_mul_f32_e32 v2, v218, v2
	v_fmac_f32_e32 v78, v235, v0
	v_mul_f32_e32 v0, v236, v0
	s_delay_alu instid0(VALU_DEP_3) | instskip(NEXT) | instid1(VALU_DEP_2)
	v_fma_f32 v68, v217, v3, -v2
	v_fma_f32 v75, v235, v1, -v0
	ds_load_2addr_b64 v[0:3], v91 offset0:68 offset1:193
	s_wait_dscnt 0x0
	v_dual_mul_f32 v74, v234, v3 :: v_dual_mul_f32 v19, v111, v1
	s_delay_alu instid0(VALU_DEP_1) | instskip(SKIP_1) | instid1(VALU_DEP_3)
	v_fmac_f32_e32 v74, v233, v2
	v_mul_f32_e32 v2, v234, v2
	v_fmac_f32_e32 v19, v110, v0
	v_mul_f32_e32 v0, v111, v0
	s_delay_alu instid0(VALU_DEP_3) | instskip(NEXT) | instid1(VALU_DEP_2)
	v_fma_f32 v72, v233, v3, -v2
	v_fma_f32 v18, v110, v1, -v0
	ds_load_2addr_b64 v[0:3], v198 offset0:80 offset1:205
	s_wait_dscnt 0x0
	v_dual_mul_f32 v17, v109, v3 :: v_dual_mul_f32 v70, v252, v1
	s_delay_alu instid0(VALU_DEP_1) | instskip(SKIP_1) | instid1(VALU_DEP_3)
	v_fmac_f32_e32 v17, v108, v2
	v_mul_f32_e32 v2, v109, v2
	v_fmac_f32_e32 v70, v251, v0
	v_mul_f32_e32 v0, v252, v0
	s_delay_alu instid0(VALU_DEP_3) | instskip(NEXT) | instid1(VALU_DEP_2)
	v_fma_f32 v16, v108, v3, -v2
	v_fma_f32 v56, v251, v1, -v0
	ds_load_2addr_b64 v[0:3], v33 offset0:74 offset1:199
	s_wait_dscnt 0x0
	v_mul_f32_e32 v71, v254, v3
	s_delay_alu instid0(VALU_DEP_1) | instskip(SKIP_1) | instid1(VALU_DEP_1)
	v_fmac_f32_e32 v71, v253, v2
	v_mul_f32_e32 v2, v254, v2
	v_fma_f32 v57, v253, v3, -v2
	s_wait_loadcnt 0x0
	v_mul_f32_e32 v85, v7, v1
	s_delay_alu instid0(VALU_DEP_1) | instskip(SKIP_1) | instid1(VALU_DEP_1)
	v_fmac_f32_e32 v85, v6, v0
	v_mul_f32_e32 v0, v7, v0
	v_fma_f32 v84, v6, v1, -v0
	ds_load_2addr_b64 v[0:3], v34 offset0:86 offset1:211
	v_sub_f32_e32 v28, v84, v75
	s_wait_dscnt 0x0
	v_mul_f32_e32 v79, v5, v3
	v_dual_mul_f32 v55, v228, v1 :: v_dual_mov_b32 v126, v33
	s_delay_alu instid0(VALU_DEP_2) | instskip(NEXT) | instid1(VALU_DEP_2)
	v_fmac_f32_e32 v79, v4, v2
	v_dual_mul_f32 v2, v5, v2 :: v_dual_fmac_f32 v55, v227, v0
	v_mul_f32_e32 v0, v228, v0
	s_delay_alu instid0(VALU_DEP_3) | instskip(NEXT) | instid1(VALU_DEP_3)
	v_sub_f32_e32 v86, v79, v74
	v_fma_f32 v73, v4, v3, -v2
	s_delay_alu instid0(VALU_DEP_3) | instskip(SKIP_4) | instid1(VALU_DEP_1)
	v_fma_f32 v54, v227, v1, -v0
	ds_load_2addr_b64 v[0:3], v200 offset0:98 offset1:223
	v_sub_f32_e32 v87, v73, v72
	s_wait_dscnt 0x0
	v_mul_f32_e32 v53, v226, v3
	v_fmac_f32_e32 v53, v225, v2
	v_mul_f32_e32 v2, v226, v2
	s_delay_alu instid0(VALU_DEP_1) | instskip(SKIP_3) | instid1(VALU_DEP_1)
	v_fma_f32 v52, v225, v3, -v2
	scratch_load_b128 v[2:5], off, off offset:468 th:TH_LOAD_LU ; 16-byte Folded Reload
	s_wait_loadcnt 0x0
	v_mul_f32_e32 v58, v3, v1
	v_fmac_f32_e32 v58, v2, v0
	v_mul_f32_e32 v0, v3, v0
	s_delay_alu instid0(VALU_DEP_1) | instskip(SKIP_3) | instid1(VALU_DEP_1)
	v_fma_f32 v48, v2, v1, -v0
	ds_load_2addr_b64 v[0:3], v89 offset0:92 offset1:217
	s_wait_dscnt 0x0
	v_mul_f32_e32 v59, v5, v3
	v_fmac_f32_e32 v59, v4, v2
	v_mul_f32_e32 v2, v5, v2
	s_delay_alu instid0(VALU_DEP_2) | instskip(NEXT) | instid1(VALU_DEP_2)
	v_sub_f32_e32 v42, v59, v71
	v_fma_f32 v50, v4, v3, -v2
	scratch_load_b128 v[4:7], off, off offset:452 th:TH_LOAD_LU ; 16-byte Folded Reload
	v_sub_f32_e32 v37, v50, v57
	s_wait_loadcnt 0x0
	v_mul_f32_e32 v82, v7, v1
	s_delay_alu instid0(VALU_DEP_1) | instskip(NEXT) | instid1(VALU_DEP_1)
	v_fmac_f32_e32 v82, v6, v0
	v_dual_mul_f32 v0, v7, v0 :: v_dual_sub_f32 v99, v82, v85
	s_delay_alu instid0(VALU_DEP_1)
	v_fma_f32 v81, v6, v1, -v0
	ds_load_2addr_b64 v[0:3], v118 offset0:104 offset1:229
	v_add_f32_e32 v9, v81, v84
	v_sub_f32_e32 v96, v81, v84
	s_wait_dscnt 0x0
	v_mul_f32_e32 v80, v5, v3
	v_mul_f32_e32 v26, v248, v1
	s_delay_alu instid0(VALU_DEP_2) | instskip(SKIP_1) | instid1(VALU_DEP_3)
	v_fmac_f32_e32 v80, v4, v2
	v_mul_f32_e32 v2, v5, v2
	v_fmac_f32_e32 v26, v247, v0
	v_mul_f32_e32 v0, v248, v0
	s_delay_alu instid0(VALU_DEP_4) | instskip(NEXT) | instid1(VALU_DEP_4)
	v_sub_f32_e32 v89, v80, v77
	v_fma_f32 v51, v4, v3, -v2
	s_delay_alu instid0(VALU_DEP_3) | instskip(SKIP_3) | instid1(VALU_DEP_1)
	v_fma_f32 v27, v247, v1, -v0
	ds_load_2addr_b64 v[0:3], v199 offset0:116 offset1:241
	s_wait_dscnt 0x0
	v_mul_f32_e32 v24, v246, v3
	v_fmac_f32_e32 v24, v245, v2
	v_mul_f32_e32 v2, v246, v2
	s_delay_alu instid0(VALU_DEP_1) | instskip(SKIP_3) | instid1(VALU_DEP_1)
	v_fma_f32 v25, v245, v3, -v2
	scratch_load_b128 v[2:5], off, off offset:436 th:TH_LOAD_LU ; 16-byte Folded Reload
	s_wait_loadcnt 0x0
	v_mul_f32_e32 v49, v3, v1
	v_fmac_f32_e32 v49, v2, v0
	v_mul_f32_e32 v0, v3, v0
	s_delay_alu instid0(VALU_DEP_1) | instskip(SKIP_3) | instid1(VALU_DEP_1)
	v_fma_f32 v44, v2, v1, -v0
	ds_load_2addr_b64 v[0:3], v90 offset0:110 offset1:235
	s_wait_dscnt 0x0
	v_dual_sub_f32 v90, v51, v76 :: v_dual_mul_f32 v45, v5, v3
	v_fmac_f32_e32 v45, v4, v2
	v_mul_f32_e32 v2, v5, v2
	s_delay_alu instid0(VALU_DEP_2) | instskip(NEXT) | instid1(VALU_DEP_2)
	v_sub_f32_e32 v40, v45, v69
	v_fma_f32 v46, v4, v3, -v2
	scratch_load_b128 v[4:7], off, off offset:564 th:TH_LOAD_LU ; 16-byte Folded Reload
	v_sub_f32_e32 v35, v46, v68
	s_wait_loadcnt 0x0
	v_mul_f32_e32 v47, v7, v1
	s_delay_alu instid0(VALU_DEP_1) | instskip(SKIP_1) | instid1(VALU_DEP_2)
	v_fmac_f32_e32 v47, v6, v0
	v_dual_mul_f32 v0, v7, v0 :: v_dual_add_f32 v7, v82, v85
	v_sub_f32_e32 v100, v47, v78
	s_delay_alu instid0(VALU_DEP_2) | instskip(SKIP_4) | instid1(VALU_DEP_1)
	v_fma_f32 v60, v6, v1, -v0
	ds_load_2addr_b64 v[0:3], v208 offset0:122 offset1:247
	v_sub_f32_e32 v97, v60, v75
	s_wait_dscnt 0x0
	v_mul_f32_e32 v22, v5, v3
	v_fmac_f32_e32 v22, v4, v2
	v_mul_f32_e32 v2, v5, v2
	s_delay_alu instid0(VALU_DEP_1) | instskip(SKIP_1) | instid1(VALU_DEP_2)
	v_fma_f32 v21, v4, v3, -v2
	v_dual_sub_f32 v2, v47, v82 :: v_dual_sub_f32 v3, v78, v85
	v_add_f32_e32 v8, v21, v51
	s_delay_alu instid0(VALU_DEP_2) | instskip(SKIP_1) | instid1(VALU_DEP_1)
	v_add_f32_e32 v20, v2, v3
	v_dual_sub_f32 v2, v60, v81 :: v_dual_sub_f32 v3, v75, v84
	v_dual_add_f32 v8, v8, v73 :: v_dual_add_f32 v23, v2, v3
	v_dual_sub_f32 v2, v80, v79 :: v_dual_sub_f32 v3, v77, v74
	s_delay_alu instid0(VALU_DEP_1) | instskip(SKIP_1) | instid1(VALU_DEP_2)
	v_dual_add_f32 v8, v8, v72 :: v_dual_add_f32 v61, v2, v3
	v_dual_sub_f32 v2, v51, v73 :: v_dual_sub_f32 v3, v76, v72
	v_add_f32_e32 v103, v8, v76
	s_delay_alu instid0(VALU_DEP_2) | instskip(NEXT) | instid1(VALU_DEP_1)
	v_dual_add_f32 v83, v2, v3 :: v_dual_add_f32 v2, v79, v74
	v_fma_f32 v62, -0.5, v2, v22
	s_delay_alu instid0(VALU_DEP_1) | instskip(NEXT) | instid1(VALU_DEP_1)
	v_dual_add_f32 v2, v73, v72 :: v_dual_fmamk_f32 v3, v90, 0xbf737871, v62
	v_fma_f32 v63, -0.5, v2, v21
	v_fmac_f32_e32 v62, 0x3f737871, v90
	s_delay_alu instid0(VALU_DEP_3) | instskip(NEXT) | instid1(VALU_DEP_3)
	v_fmac_f32_e32 v3, 0xbf167918, v87
	v_fmamk_f32 v2, v89, 0x3f737871, v63
	v_fmac_f32_e32 v63, 0xbf737871, v89
	s_delay_alu instid0(VALU_DEP_4) | instskip(NEXT) | instid1(VALU_DEP_4)
	v_fmac_f32_e32 v62, 0x3f167918, v87
	v_fmac_f32_e32 v3, 0x3e9e377a, v61
	s_delay_alu instid0(VALU_DEP_4) | instskip(NEXT) | instid1(VALU_DEP_4)
	v_fmac_f32_e32 v2, 0x3f167918, v86
	v_fmac_f32_e32 v63, 0xbf167918, v86
	s_delay_alu instid0(VALU_DEP_4) | instskip(NEXT) | instid1(VALU_DEP_3)
	v_fmac_f32_e32 v62, 0x3e9e377a, v61
	v_fmac_f32_e32 v2, 0x3e9e377a, v83
	s_delay_alu instid0(VALU_DEP_3) | instskip(NEXT) | instid1(VALU_DEP_2)
	v_fmac_f32_e32 v63, 0x3e9e377a, v83
	v_mul_f32_e32 v88, 0xbf167918, v2
	s_delay_alu instid0(VALU_DEP_1) | instskip(NEXT) | instid1(VALU_DEP_1)
	v_dual_mul_f32 v91, 0x3f4f1bbd, v2 :: v_dual_fmac_f32 v88, 0x3f4f1bbd, v3
	v_fmac_f32_e32 v91, 0x3f167918, v3
	ds_load_2addr_b64 v[2:5], v196 offset1:125
	global_wb scope:SCOPE_SE
	s_wait_dscnt 0x0
	s_barrier_signal -1
	s_barrier_wait -1
	global_inv scope:SCOPE_SE
	scratch_load_b32 v33, off, off offset:420 th:TH_LOAD_LU ; 4-byte Folded Reload
	v_fma_f32 v93, -0.5, v9, v3
	v_add_f32_e32 v6, v2, v47
	v_fma_f32 v92, -0.5, v7, v2
	v_add_f32_e32 v7, v22, v80
	s_delay_alu instid0(VALU_DEP_4) | instskip(NEXT) | instid1(VALU_DEP_4)
	v_fmamk_f32 v95, v100, 0x3f737871, v93
	v_dual_fmac_f32 v93, 0xbf737871, v100 :: v_dual_add_f32 v6, v6, v82
	s_delay_alu instid0(VALU_DEP_3) | instskip(NEXT) | instid1(VALU_DEP_3)
	v_dual_fmamk_f32 v94, v97, 0xbf737871, v92 :: v_dual_add_f32 v7, v7, v79
	v_fmac_f32_e32 v95, 0x3f167918, v99
	s_delay_alu instid0(VALU_DEP_3) | instskip(NEXT) | instid1(VALU_DEP_3)
	v_dual_fmac_f32 v93, 0xbf167918, v99 :: v_dual_add_f32 v6, v6, v85
	v_dual_fmac_f32 v94, 0xbf167918, v96 :: v_dual_add_f32 v7, v7, v74
	s_delay_alu instid0(VALU_DEP_3) | instskip(NEXT) | instid1(VALU_DEP_3)
	v_fmac_f32_e32 v95, 0x3e9e377a, v23
	v_fmac_f32_e32 v93, 0x3e9e377a, v23
	scratch_load_b32 v23, off, off offset:316 th:TH_LOAD_LU ; 4-byte Folded Reload
	v_add_f32_e32 v98, v6, v78
	v_add_f32_e32 v6, v3, v60
	;; [unrolled: 1-line block ×3, first 2 shown]
	v_dual_fmac_f32 v94, 0x3e9e377a, v20 :: v_dual_add_f32 v9, v95, v91
	v_fmac_f32_e32 v92, 0x3f737871, v97
	s_delay_alu instid0(VALU_DEP_4) | instskip(NEXT) | instid1(VALU_DEP_3)
	v_add_f32_e32 v6, v6, v81
	v_add_f32_e32 v8, v94, v88
	s_delay_alu instid0(VALU_DEP_3) | instskip(NEXT) | instid1(VALU_DEP_3)
	v_fmac_f32_e32 v92, 0x3f167918, v96
	v_add_f32_e32 v6, v6, v84
	s_delay_alu instid0(VALU_DEP_1) | instskip(SKIP_2) | instid1(VALU_DEP_1)
	v_dual_fmac_f32 v92, 0x3e9e377a, v20 :: v_dual_add_f32 v101, v6, v75
	v_add_f32_e32 v6, v98, v102
	v_mul_f32_e32 v20, 0xbf167918, v63
	v_dual_add_f32 v7, v101, v103 :: v_dual_fmac_f32 v20, 0xbf4f1bbd, v62
	s_wait_loadcnt 0x1
	ds_store_2addr_b64 v33, v[6:7], v[8:9] offset1:75
	v_dual_sub_f32 v6, v82, v47 :: v_dual_sub_f32 v7, v85, v78
	v_dual_add_f32 v8, v47, v78 :: v_dual_add_f32 v9, v60, v75
	s_delay_alu instid0(VALU_DEP_2) | instskip(NEXT) | instid1(VALU_DEP_2)
	v_dual_add_f32 v6, v6, v7 :: v_dual_sub_f32 v7, v81, v60
	v_fma_f32 v8, -0.5, v8, v2
	s_delay_alu instid0(VALU_DEP_3)
	v_fma_f32 v9, -0.5, v9, v3
	v_add_f32_e32 v3, v51, v76
	scratch_load_b32 v60, off, off offset:424 th:TH_LOAD_LU ; 4-byte Folded Reload
	v_dual_add_f32 v2, v7, v28 :: v_dual_fmamk_f32 v29, v96, 0x3f737871, v8
	v_dual_fmac_f32 v8, 0xbf737871, v96 :: v_dual_add_f32 v7, v80, v77
	v_fmamk_f32 v30, v99, 0xbf737871, v9
	v_fmac_f32_e32 v9, 0x3f737871, v99
	s_delay_alu instid0(VALU_DEP_4) | instskip(NEXT) | instid1(VALU_DEP_4)
	v_fmac_f32_e32 v29, 0xbf167918, v97
	v_fmac_f32_e32 v8, 0x3f167918, v97
	v_fmac_f32_e32 v22, -0.5, v7
	v_sub_f32_e32 v28, v74, v77
	v_fmac_f32_e32 v30, 0x3f167918, v100
	v_fmac_f32_e32 v29, 0x3e9e377a, v6
	;; [unrolled: 1-line block ×3, first 2 shown]
	v_sub_f32_e32 v6, v79, v80
	v_fmac_f32_e32 v9, 0xbf167918, v100
	v_fmamk_f32 v7, v87, 0x3f737871, v22
	v_fmac_f32_e32 v22, 0xbf737871, v87
	v_dual_fmac_f32 v30, 0x3e9e377a, v2 :: v_dual_fmac_f32 v21, -0.5, v3
	s_delay_alu instid0(VALU_DEP_4) | instskip(SKIP_4) | instid1(VALU_DEP_3)
	v_dual_fmac_f32 v9, 0x3e9e377a, v2 :: v_dual_add_f32 v2, v6, v28
	v_dual_sub_f32 v3, v73, v51 :: v_dual_sub_f32 v6, v72, v76
	v_fmac_f32_e32 v7, 0xbf167918, v90
	v_fmac_f32_e32 v22, 0x3f167918, v90
	v_add_nc_u32_e32 v74, 0x4800, v196
	v_fmac_f32_e32 v7, 0x3e9e377a, v2
	s_delay_alu instid0(VALU_DEP_3) | instskip(SKIP_2) | instid1(VALU_DEP_2)
	v_fmac_f32_e32 v22, 0x3e9e377a, v2
	v_dual_add_f32 v2, v3, v6 :: v_dual_fmamk_f32 v3, v86, 0xbf737871, v21
	v_fmac_f32_e32 v21, 0x3f737871, v86
	v_fmac_f32_e32 v3, 0x3f167918, v89
	s_delay_alu instid0(VALU_DEP_2) | instskip(NEXT) | instid1(VALU_DEP_2)
	v_fmac_f32_e32 v21, 0xbf167918, v89
	v_fmac_f32_e32 v3, 0x3e9e377a, v2
	s_delay_alu instid0(VALU_DEP_2) | instskip(NEXT) | instid1(VALU_DEP_2)
	v_fmac_f32_e32 v21, 0x3e9e377a, v2
	v_mul_f32_e32 v28, 0xbf737871, v3
	v_mul_f32_e32 v31, 0x3e9e377a, v3
	s_delay_alu instid0(VALU_DEP_3) | instskip(SKIP_1) | instid1(VALU_DEP_4)
	v_mul_f32_e32 v32, 0xbf737871, v21
	v_mul_f32_e32 v21, 0xbe9e377a, v21
	v_fmac_f32_e32 v28, 0x3e9e377a, v7
	s_delay_alu instid0(VALU_DEP_4) | instskip(NEXT) | instid1(VALU_DEP_4)
	v_fmac_f32_e32 v31, 0x3f737871, v7
	v_fmac_f32_e32 v32, 0xbe9e377a, v22
	s_delay_alu instid0(VALU_DEP_4) | instskip(SKIP_1) | instid1(VALU_DEP_4)
	v_fmac_f32_e32 v21, 0x3f737871, v22
	v_mul_f32_e32 v22, 0xbf4f1bbd, v63
	v_dual_add_f32 v2, v29, v28 :: v_dual_add_f32 v3, v30, v31
	s_delay_alu instid0(VALU_DEP_3) | instskip(NEXT) | instid1(VALU_DEP_3)
	v_dual_add_f32 v6, v8, v32 :: v_dual_add_f32 v7, v9, v21
	v_fmac_f32_e32 v22, 0x3f167918, v62
	ds_store_2addr_b64 v33, v[2:3], v[6:7] offset0:150 offset1:225
	v_dual_sub_f32 v2, v98, v102 :: v_dual_sub_f32 v3, v101, v103
	v_dual_add_f32 v6, v92, v20 :: v_dual_add_f32 v7, v93, v22
	s_wait_loadcnt 0x1
	ds_store_2addr_b64 v23, v[6:7], v[2:3] offset0:44 offset1:119
	scratch_load_b32 v23, off, off offset:320 th:TH_LOAD_LU ; 4-byte Folded Reload
	v_dual_sub_f32 v2, v94, v88 :: v_dual_sub_f32 v3, v95, v91
	v_dual_sub_f32 v6, v29, v28 :: v_dual_sub_f32 v7, v30, v31
	v_sub_f32_e32 v30, v48, v65
	v_dual_sub_f32 v31, v56, v66 :: v_dual_sub_f32 v28, v58, v64
	v_sub_f32_e32 v29, v70, v67
	s_wait_loadcnt 0x0
	ds_store_2addr_b64 v23, v[2:3], v[6:7] offset0:66 offset1:141
	v_sub_f32_e32 v2, v8, v32
	scratch_load_b32 v8, off, off offset:324 th:TH_LOAD_LU ; 4-byte Folded Reload
	v_dual_sub_f32 v3, v9, v21 :: v_dual_sub_f32 v6, v92, v20
	v_sub_f32_e32 v7, v93, v22
	s_wait_loadcnt 0x0
	ds_store_2addr_b64 v8, v[2:3], v[6:7] offset0:88 offset1:163
	v_sub_f32_e32 v2, v45, v59
	v_sub_f32_e32 v3, v69, v71
	v_dual_add_f32 v7, v50, v57 :: v_dual_add_f32 v6, v44, v48
	s_delay_alu instid0(VALU_DEP_2) | instskip(SKIP_1) | instid1(VALU_DEP_3)
	v_add_f32_e32 v8, v2, v3
	v_dual_sub_f32 v2, v46, v50 :: v_dual_sub_f32 v3, v68, v57
	v_fma_f32 v39, -0.5, v7, v5
	s_delay_alu instid0(VALU_DEP_4) | instskip(NEXT) | instid1(VALU_DEP_3)
	v_add_f32_e32 v6, v6, v56
	v_add_f32_e32 v9, v2, v3
	v_dual_sub_f32 v2, v58, v70 :: v_dual_sub_f32 v3, v64, v67
	s_delay_alu instid0(VALU_DEP_3) | instskip(NEXT) | instid1(VALU_DEP_2)
	v_dual_fmamk_f32 v41, v40, 0x3f737871, v39 :: v_dual_add_f32 v6, v6, v66
	v_dual_fmac_f32 v39, 0xbf737871, v40 :: v_dual_add_f32 v20, v2, v3
	v_dual_sub_f32 v2, v48, v56 :: v_dual_sub_f32 v3, v65, v66
	s_delay_alu instid0(VALU_DEP_3) | instskip(NEXT) | instid1(VALU_DEP_4)
	v_fmac_f32_e32 v41, 0x3f167918, v42
	v_add_f32_e32 v51, v6, v65
	s_delay_alu instid0(VALU_DEP_4) | instskip(NEXT) | instid1(VALU_DEP_4)
	v_fmac_f32_e32 v39, 0xbf167918, v42
	v_add_f32_e32 v21, v2, v3
	s_delay_alu instid0(VALU_DEP_4) | instskip(NEXT) | instid1(VALU_DEP_3)
	v_dual_add_f32 v2, v70, v67 :: v_dual_fmac_f32 v41, 0x3e9e377a, v9
	v_fmac_f32_e32 v39, 0x3e9e377a, v9
	s_delay_alu instid0(VALU_DEP_2) | instskip(NEXT) | instid1(VALU_DEP_1)
	v_fma_f32 v22, -0.5, v2, v49
	v_dual_add_f32 v2, v56, v66 :: v_dual_fmamk_f32 v3, v30, 0xbf737871, v22
	v_fmac_f32_e32 v22, 0x3f737871, v30
	s_delay_alu instid0(VALU_DEP_2) | instskip(NEXT) | instid1(VALU_DEP_3)
	v_fma_f32 v23, -0.5, v2, v44
	v_fmac_f32_e32 v3, 0xbf167918, v31
	s_delay_alu instid0(VALU_DEP_3) | instskip(NEXT) | instid1(VALU_DEP_3)
	v_fmac_f32_e32 v22, 0x3f167918, v31
	v_fmamk_f32 v2, v28, 0x3f737871, v23
	v_fmac_f32_e32 v23, 0xbf737871, v28
	s_delay_alu instid0(VALU_DEP_4) | instskip(NEXT) | instid1(VALU_DEP_4)
	v_fmac_f32_e32 v3, 0x3e9e377a, v20
	v_fmac_f32_e32 v22, 0x3e9e377a, v20
	scratch_load_b32 v20, off, off offset:328 th:TH_LOAD_LU ; 4-byte Folded Reload
	v_fmac_f32_e32 v2, 0x3f167918, v29
	v_fmac_f32_e32 v23, 0xbf167918, v29
	s_delay_alu instid0(VALU_DEP_2) | instskip(NEXT) | instid1(VALU_DEP_2)
	v_fmac_f32_e32 v2, 0x3e9e377a, v21
	v_fmac_f32_e32 v23, 0x3e9e377a, v21
	s_delay_alu instid0(VALU_DEP_2) | instskip(SKIP_1) | instid1(VALU_DEP_3)
	v_mul_f32_e32 v32, 0xbf167918, v2
	v_dual_mul_f32 v33, 0x3f4f1bbd, v2 :: v_dual_add_f32 v2, v4, v45
	v_mul_f32_e32 v9, 0xbf4f1bbd, v23
	s_delay_alu instid0(VALU_DEP_3) | instskip(NEXT) | instid1(VALU_DEP_3)
	v_fmac_f32_e32 v32, 0x3f4f1bbd, v3
	v_fmac_f32_e32 v33, 0x3f167918, v3
	s_delay_alu instid0(VALU_DEP_4) | instskip(SKIP_2) | instid1(VALU_DEP_3)
	v_add_f32_e32 v2, v2, v59
	v_add_f32_e32 v3, v59, v71
	v_fmac_f32_e32 v9, 0x3f167918, v22
	v_dual_add_f32 v7, v41, v33 :: v_dual_add_f32 v2, v2, v71
	s_delay_alu instid0(VALU_DEP_3) | instskip(NEXT) | instid1(VALU_DEP_2)
	v_fma_f32 v34, -0.5, v3, v4
	v_dual_add_f32 v3, v49, v58 :: v_dual_add_f32 v38, v2, v69
	v_add_f32_e32 v2, v5, v46
	s_delay_alu instid0(VALU_DEP_3) | instskip(NEXT) | instid1(VALU_DEP_3)
	v_fmamk_f32 v36, v35, 0xbf737871, v34
	v_dual_add_f32 v3, v3, v70 :: v_dual_fmac_f32 v34, 0x3f737871, v35
	s_delay_alu instid0(VALU_DEP_3) | instskip(NEXT) | instid1(VALU_DEP_2)
	v_add_f32_e32 v2, v2, v50
	v_dual_fmac_f32 v36, 0xbf167918, v37 :: v_dual_add_f32 v3, v3, v67
	s_delay_alu instid0(VALU_DEP_3) | instskip(NEXT) | instid1(VALU_DEP_3)
	v_fmac_f32_e32 v34, 0x3f167918, v37
	v_add_f32_e32 v2, v2, v57
	s_delay_alu instid0(VALU_DEP_3) | instskip(NEXT) | instid1(VALU_DEP_4)
	v_fmac_f32_e32 v36, 0x3e9e377a, v8
	v_add_f32_e32 v47, v3, v64
	s_delay_alu instid0(VALU_DEP_4) | instskip(NEXT) | instid1(VALU_DEP_4)
	v_fmac_f32_e32 v34, 0x3e9e377a, v8
	v_dual_mul_f32 v8, 0xbf167918, v23 :: v_dual_add_f32 v43, v2, v68
	s_delay_alu instid0(VALU_DEP_4) | instskip(NEXT) | instid1(VALU_DEP_4)
	v_add_f32_e32 v6, v36, v32
	v_dual_add_f32 v2, v38, v47 :: v_dual_sub_f32 v23, v17, v13
	s_delay_alu instid0(VALU_DEP_3)
	v_dual_fmac_f32 v8, 0xbf4f1bbd, v22 :: v_dual_add_f32 v3, v43, v51
	v_sub_f32_e32 v22, v53, v10
	ds_store_2addr_b64 v60, v[2:3], v[6:7] offset1:75
	v_add_f32_e32 v6, v45, v69
	v_sub_f32_e32 v2, v59, v45
	v_sub_f32_e32 v3, v71, v69
	v_add_f32_e32 v7, v46, v68
	v_sub_f32_e32 v45, v57, v68
	v_fma_f32 v4, -0.5, v6, v4
	v_add_f32_e32 v6, v58, v64
	v_add_f32_e32 v2, v2, v3
	v_sub_f32_e32 v3, v50, v46
	s_delay_alu instid0(VALU_DEP_4) | instskip(SKIP_2) | instid1(VALU_DEP_3)
	v_dual_fmac_f32 v5, -0.5, v7 :: v_dual_fmamk_f32 v46, v37, 0x3f737871, v4
	v_dual_fmac_f32 v4, 0xbf737871, v37 :: v_dual_sub_f32 v7, v67, v64
	v_dual_fmac_f32 v49, -0.5, v6 :: v_dual_sub_f32 v6, v66, v65
	v_fmac_f32_e32 v46, 0xbf167918, v35
	s_delay_alu instid0(VALU_DEP_3) | instskip(NEXT) | instid1(VALU_DEP_2)
	v_dual_fmac_f32 v4, 0x3f167918, v35 :: v_dual_sub_f32 v35, v54, v18
	v_fmac_f32_e32 v46, 0x3e9e377a, v2
	s_delay_alu instid0(VALU_DEP_2) | instskip(SKIP_3) | instid1(VALU_DEP_3)
	v_fmac_f32_e32 v4, 0x3e9e377a, v2
	v_dual_add_f32 v2, v3, v45 :: v_dual_fmamk_f32 v45, v42, 0xbf737871, v5
	v_fmac_f32_e32 v5, 0x3f737871, v42
	v_sub_f32_e32 v3, v70, v58
	v_fmac_f32_e32 v45, 0x3f167918, v40
	s_delay_alu instid0(VALU_DEP_3) | instskip(NEXT) | instid1(VALU_DEP_2)
	v_dual_fmac_f32 v5, 0xbf167918, v40 :: v_dual_sub_f32 v40, v55, v19
	v_fmac_f32_e32 v45, 0x3e9e377a, v2
	s_delay_alu instid0(VALU_DEP_2) | instskip(SKIP_3) | instid1(VALU_DEP_3)
	v_dual_fmac_f32 v5, 0x3e9e377a, v2 :: v_dual_add_f32 v2, v3, v7
	v_add_f32_e32 v3, v48, v65
	v_fmamk_f32 v7, v31, 0x3f737871, v49
	v_fmac_f32_e32 v49, 0xbf737871, v31
	v_dual_fmac_f32 v44, -0.5, v3 :: v_dual_sub_f32 v3, v56, v48
	s_delay_alu instid0(VALU_DEP_3) | instskip(NEXT) | instid1(VALU_DEP_3)
	v_fmac_f32_e32 v7, 0xbf167918, v30
	v_fmac_f32_e32 v49, 0x3f167918, v30
	s_delay_alu instid0(VALU_DEP_2) | instskip(NEXT) | instid1(VALU_DEP_2)
	v_fmac_f32_e32 v7, 0x3e9e377a, v2
	v_fmac_f32_e32 v49, 0x3e9e377a, v2
	v_dual_add_f32 v2, v3, v6 :: v_dual_fmamk_f32 v3, v29, 0xbf737871, v44
	v_dual_fmac_f32 v44, 0x3f737871, v29 :: v_dual_sub_f32 v29, v16, v12
	s_delay_alu instid0(VALU_DEP_2) | instskip(NEXT) | instid1(VALU_DEP_2)
	v_fmac_f32_e32 v3, 0x3f167918, v28
	v_fmac_f32_e32 v44, 0xbf167918, v28
	s_delay_alu instid0(VALU_DEP_2) | instskip(NEXT) | instid1(VALU_DEP_2)
	v_dual_sub_f32 v28, v52, v11 :: v_dual_fmac_f32 v3, 0x3e9e377a, v2
	v_fmac_f32_e32 v44, 0x3e9e377a, v2
	s_delay_alu instid0(VALU_DEP_2) | instskip(SKIP_1) | instid1(VALU_DEP_3)
	v_mul_f32_e32 v48, 0xbf737871, v3
	v_mul_f32_e32 v50, 0x3e9e377a, v3
	;; [unrolled: 1-line block ×4, first 2 shown]
	s_delay_alu instid0(VALU_DEP_4) | instskip(NEXT) | instid1(VALU_DEP_4)
	v_fmac_f32_e32 v48, 0x3e9e377a, v7
	v_fmac_f32_e32 v50, 0x3f737871, v7
	s_delay_alu instid0(VALU_DEP_4) | instskip(NEXT) | instid1(VALU_DEP_4)
	v_fmac_f32_e32 v56, 0xbe9e377a, v49
	v_fmac_f32_e32 v44, 0x3f737871, v49
	s_delay_alu instid0(VALU_DEP_3) | instskip(NEXT) | instid1(VALU_DEP_3)
	v_dual_add_f32 v2, v46, v48 :: v_dual_add_f32 v3, v45, v50
	v_add_f32_e32 v6, v4, v56
	s_delay_alu instid0(VALU_DEP_3)
	v_add_f32_e32 v7, v5, v44
	ds_store_2addr_b64 v60, v[2:3], v[6:7] offset0:150 offset1:225
	v_sub_f32_e32 v2, v38, v47
	v_dual_sub_f32 v3, v43, v51 :: v_dual_add_f32 v6, v34, v8
	v_dual_add_f32 v7, v39, v9 :: v_dual_sub_f32 v38, v26, v15
	s_wait_loadcnt 0x0
	ds_store_2addr_b64 v20, v[6:7], v[2:3] offset0:44 offset1:119
	scratch_load_b32 v20, off, off offset:332 th:TH_LOAD_LU ; 4-byte Folded Reload
	v_dual_sub_f32 v2, v36, v32 :: v_dual_sub_f32 v3, v41, v33
	v_dual_sub_f32 v6, v46, v48 :: v_dual_sub_f32 v7, v45, v50
	v_sub_f32_e32 v33, v27, v14
	s_wait_loadcnt 0x0
	ds_store_2addr_b64 v20, v[2:3], v[6:7] offset0:66 offset1:141
	scratch_load_b32 v6, off, off offset:336 th:TH_LOAD_LU ; 4-byte Folded Reload
	v_sub_f32_e32 v3, v5, v44
	v_sub_f32_e32 v2, v4, v56
	v_dual_sub_f32 v4, v34, v8 :: v_dual_sub_f32 v5, v39, v9
	s_wait_loadcnt 0x0
	ds_store_2addr_b64 v6, v[2:3], v[4:5] offset0:88 offset1:163
	v_sub_f32_e32 v2, v26, v55
	v_sub_f32_e32 v3, v15, v19
	v_dual_add_f32 v5, v54, v18 :: v_dual_add_f32 v4, v25, v52
	s_delay_alu instid0(VALU_DEP_2) | instskip(SKIP_2) | instid1(VALU_DEP_4)
	v_add_f32_e32 v6, v2, v3
	v_sub_f32_e32 v2, v27, v54
	v_sub_f32_e32 v3, v14, v18
	v_fma_f32 v37, -0.5, v5, v1
	s_delay_alu instid0(VALU_DEP_2) | instskip(SKIP_2) | instid1(VALU_DEP_3)
	v_dual_add_f32 v4, v4, v16 :: v_dual_add_f32 v7, v2, v3
	v_sub_f32_e32 v2, v53, v17
	v_sub_f32_e32 v3, v10, v13
	v_dual_fmamk_f32 v39, v38, 0x3f737871, v37 :: v_dual_add_f32 v4, v4, v12
	s_delay_alu instid0(VALU_DEP_2) | instskip(SKIP_2) | instid1(VALU_DEP_4)
	v_dual_fmac_f32 v37, 0xbf737871, v38 :: v_dual_add_f32 v8, v2, v3
	v_sub_f32_e32 v2, v52, v16
	v_sub_f32_e32 v3, v11, v12
	v_fmac_f32_e32 v39, 0x3f167918, v40
	v_add_f32_e32 v43, v4, v11
	v_fmac_f32_e32 v37, 0xbf167918, v40
	s_delay_alu instid0(VALU_DEP_4) | instskip(NEXT) | instid1(VALU_DEP_4)
	v_dual_add_f32 v9, v2, v3 :: v_dual_add_f32 v2, v17, v13
	v_fmac_f32_e32 v39, 0x3e9e377a, v7
	s_delay_alu instid0(VALU_DEP_3) | instskip(NEXT) | instid1(VALU_DEP_3)
	v_fmac_f32_e32 v37, 0x3e9e377a, v7
	v_fma_f32 v20, -0.5, v2, v24
	v_add_f32_e32 v2, v16, v12
	s_delay_alu instid0(VALU_DEP_2) | instskip(SKIP_1) | instid1(VALU_DEP_3)
	v_fmamk_f32 v3, v28, 0xbf737871, v20
	v_fmac_f32_e32 v20, 0x3f737871, v28
	v_fma_f32 v21, -0.5, v2, v25
	s_delay_alu instid0(VALU_DEP_3) | instskip(NEXT) | instid1(VALU_DEP_3)
	v_fmac_f32_e32 v3, 0xbf167918, v29
	v_fmac_f32_e32 v20, 0x3f167918, v29
	s_delay_alu instid0(VALU_DEP_3) | instskip(SKIP_1) | instid1(VALU_DEP_4)
	v_fmamk_f32 v2, v22, 0x3f737871, v21
	v_fmac_f32_e32 v21, 0xbf737871, v22
	v_fmac_f32_e32 v3, 0x3e9e377a, v8
	s_delay_alu instid0(VALU_DEP_4) | instskip(SKIP_3) | instid1(VALU_DEP_2)
	v_fmac_f32_e32 v20, 0x3e9e377a, v8
	scratch_load_b32 v8, off, off offset:340 th:TH_LOAD_LU ; 4-byte Folded Reload
	v_fmac_f32_e32 v2, 0x3f167918, v23
	v_fmac_f32_e32 v21, 0xbf167918, v23
	v_fmac_f32_e32 v2, 0x3e9e377a, v9
	s_delay_alu instid0(VALU_DEP_2) | instskip(NEXT) | instid1(VALU_DEP_2)
	v_fmac_f32_e32 v21, 0x3e9e377a, v9
	v_mul_f32_e32 v30, 0xbf167918, v2
	v_mul_f32_e32 v31, 0x3f4f1bbd, v2
	s_delay_alu instid0(VALU_DEP_3) | instskip(NEXT) | instid1(VALU_DEP_3)
	v_dual_add_f32 v2, v0, v26 :: v_dual_mul_f32 v7, 0xbf4f1bbd, v21
	v_fmac_f32_e32 v30, 0x3f4f1bbd, v3
	s_delay_alu instid0(VALU_DEP_3) | instskip(NEXT) | instid1(VALU_DEP_3)
	v_fmac_f32_e32 v31, 0x3f167918, v3
	v_add_f32_e32 v2, v2, v55
	v_add_f32_e32 v3, v55, v19
	v_fmac_f32_e32 v7, 0x3f167918, v20
	s_delay_alu instid0(VALU_DEP_4) | instskip(NEXT) | instid1(VALU_DEP_4)
	v_add_f32_e32 v5, v39, v31
	v_add_f32_e32 v2, v2, v19
	s_delay_alu instid0(VALU_DEP_4) | instskip(NEXT) | instid1(VALU_DEP_2)
	v_fma_f32 v32, -0.5, v3, v0
	v_dual_add_f32 v3, v24, v53 :: v_dual_add_f32 v36, v2, v15
	v_add_f32_e32 v2, v1, v27
	s_delay_alu instid0(VALU_DEP_2) | instskip(SKIP_1) | instid1(VALU_DEP_3)
	v_dual_fmamk_f32 v34, v33, 0xbf737871, v32 :: v_dual_add_f32 v3, v3, v17
	v_fmac_f32_e32 v32, 0x3f737871, v33
	v_add_f32_e32 v2, v2, v54
	s_delay_alu instid0(VALU_DEP_3) | instskip(NEXT) | instid1(VALU_DEP_3)
	v_dual_fmac_f32 v34, 0xbf167918, v35 :: v_dual_add_f32 v3, v3, v13
	v_fmac_f32_e32 v32, 0x3f167918, v35
	s_delay_alu instid0(VALU_DEP_3) | instskip(NEXT) | instid1(VALU_DEP_3)
	v_add_f32_e32 v2, v2, v18
	v_fmac_f32_e32 v34, 0x3e9e377a, v6
	s_delay_alu instid0(VALU_DEP_4) | instskip(NEXT) | instid1(VALU_DEP_4)
	v_add_f32_e32 v42, v3, v10
	v_fmac_f32_e32 v32, 0x3e9e377a, v6
	s_delay_alu instid0(VALU_DEP_4) | instskip(NEXT) | instid1(VALU_DEP_4)
	v_dual_mul_f32 v6, 0xbf167918, v21 :: v_dual_add_f32 v41, v2, v14
	v_add_f32_e32 v4, v34, v30
	s_delay_alu instid0(VALU_DEP_4) | instskip(NEXT) | instid1(VALU_DEP_3)
	v_add_f32_e32 v2, v36, v42
	v_dual_fmac_f32 v6, 0xbf4f1bbd, v20 :: v_dual_add_f32 v3, v41, v43
	ds_store_2addr_b64 v255, v[2:3], v[4:5] offset1:75
	v_dual_add_f32 v4, v26, v15 :: v_dual_add_f32 v5, v27, v14
	v_sub_f32_e32 v2, v55, v26
	v_dual_sub_f32 v3, v19, v15 :: v_dual_sub_f32 v14, v18, v14
	s_delay_alu instid0(VALU_DEP_3) | instskip(NEXT) | instid1(VALU_DEP_4)
	v_fma_f32 v0, -0.5, v4, v0
	v_dual_fmac_f32 v1, -0.5, v5 :: v_dual_add_f32 v4, v53, v10
	s_delay_alu instid0(VALU_DEP_3) | instskip(SKIP_1) | instid1(VALU_DEP_4)
	v_add_f32_e32 v2, v2, v3
	v_sub_f32_e32 v3, v54, v27
	v_fmamk_f32 v15, v35, 0x3f737871, v0
	v_dual_fmac_f32 v0, 0xbf737871, v35 :: v_dual_sub_f32 v5, v13, v10
	v_fmamk_f32 v10, v40, 0xbf737871, v1
	v_fmac_f32_e32 v1, 0x3f737871, v40
	s_delay_alu instid0(VALU_DEP_4) | instskip(NEXT) | instid1(VALU_DEP_4)
	v_fmac_f32_e32 v15, 0xbf167918, v33
	v_fmac_f32_e32 v0, 0x3f167918, v33
	v_fmac_f32_e32 v24, -0.5, v4
	v_fmac_f32_e32 v10, 0x3f167918, v38
	v_fmac_f32_e32 v1, 0xbf167918, v38
	;; [unrolled: 1-line block ×4, first 2 shown]
	v_dual_add_f32 v2, v3, v14 :: v_dual_sub_f32 v3, v17, v53
	v_sub_f32_e32 v4, v12, v11
	s_delay_alu instid0(VALU_DEP_2) | instskip(NEXT) | instid1(VALU_DEP_3)
	v_fmac_f32_e32 v10, 0x3e9e377a, v2
	v_dual_fmac_f32 v1, 0x3e9e377a, v2 :: v_dual_add_f32 v2, v3, v5
	v_add_f32_e32 v3, v52, v11
	v_fmamk_f32 v5, v29, 0x3f737871, v24
	s_delay_alu instid0(VALU_DEP_2) | instskip(SKIP_1) | instid1(VALU_DEP_3)
	v_dual_fmac_f32 v24, 0xbf737871, v29 :: v_dual_fmac_f32 v25, -0.5, v3
	v_sub_f32_e32 v3, v16, v52
	v_fmac_f32_e32 v5, 0xbf167918, v28
	s_delay_alu instid0(VALU_DEP_3) | instskip(NEXT) | instid1(VALU_DEP_2)
	v_fmac_f32_e32 v24, 0x3f167918, v28
	v_fmac_f32_e32 v5, 0x3e9e377a, v2
	s_delay_alu instid0(VALU_DEP_2) | instskip(SKIP_3) | instid1(VALU_DEP_2)
	v_fmac_f32_e32 v24, 0x3e9e377a, v2
	v_add_f32_e32 v2, v3, v4
	v_fmamk_f32 v3, v23, 0xbf737871, v25
	v_fmac_f32_e32 v25, 0x3f737871, v23
	v_fmac_f32_e32 v3, 0x3f167918, v22
	s_delay_alu instid0(VALU_DEP_2) | instskip(NEXT) | instid1(VALU_DEP_2)
	v_fmac_f32_e32 v25, 0xbf167918, v22
	v_fmac_f32_e32 v3, 0x3e9e377a, v2
	s_delay_alu instid0(VALU_DEP_2) | instskip(NEXT) | instid1(VALU_DEP_2)
	v_fmac_f32_e32 v25, 0x3e9e377a, v2
	v_mul_f32_e32 v11, 0xbf737871, v3
	v_mul_f32_e32 v12, 0x3e9e377a, v3
	s_delay_alu instid0(VALU_DEP_3) | instskip(SKIP_1) | instid1(VALU_DEP_4)
	v_mul_f32_e32 v13, 0xbf737871, v25
	v_mul_f32_e32 v14, 0xbe9e377a, v25
	v_fmac_f32_e32 v11, 0x3e9e377a, v5
	s_delay_alu instid0(VALU_DEP_4) | instskip(NEXT) | instid1(VALU_DEP_4)
	v_fmac_f32_e32 v12, 0x3f737871, v5
	v_fmac_f32_e32 v13, 0xbe9e377a, v24
	s_delay_alu instid0(VALU_DEP_4) | instskip(NEXT) | instid1(VALU_DEP_3)
	v_fmac_f32_e32 v14, 0x3f737871, v24
	v_dual_add_f32 v2, v15, v11 :: v_dual_add_f32 v3, v10, v12
	s_delay_alu instid0(VALU_DEP_2)
	v_dual_add_f32 v4, v0, v13 :: v_dual_add_f32 v5, v1, v14
	v_dual_sub_f32 v1, v1, v14 :: v_dual_sub_f32 v0, v0, v13
	ds_store_2addr_b64 v255, v[2:3], v[4:5] offset0:150 offset1:225
	v_dual_sub_f32 v2, v36, v42 :: v_dual_sub_f32 v3, v41, v43
	v_dual_add_f32 v4, v32, v6 :: v_dual_add_f32 v5, v37, v7
	s_wait_loadcnt 0x0
	ds_store_2addr_b64 v8, v[4:5], v[2:3] offset0:44 offset1:119
	scratch_load_b32 v8, off, off offset:344 th:TH_LOAD_LU ; 4-byte Folded Reload
	v_dual_sub_f32 v2, v34, v30 :: v_dual_sub_f32 v3, v39, v31
	v_dual_sub_f32 v4, v15, v11 :: v_dual_sub_f32 v5, v10, v12
	s_wait_loadcnt 0x0
	ds_store_2addr_b64 v8, v[2:3], v[4:5] offset0:66 offset1:141
	scratch_load_b32 v4, off, off offset:348 th:TH_LOAD_LU ; 4-byte Folded Reload
	v_dual_sub_f32 v2, v32, v6 :: v_dual_sub_f32 v3, v37, v7
	s_wait_loadcnt 0x0
	ds_store_2addr_b64 v4, v[0:1], v[2:3] offset0:88 offset1:163
	global_wb scope:SCOPE_SE
	s_wait_dscnt 0x0
	s_barrier_signal -1
	s_barrier_wait -1
	global_inv scope:SCOPE_SE
	scratch_load_b128 v[6:9], off, off offset:404 th:TH_LOAD_LU ; 16-byte Folded Reload
	ds_load_2addr_b64 v[0:3], v104 offset0:110 offset1:235
	ds_load_2addr_b64 v[12:15], v198 offset0:80 offset1:205
	;; [unrolled: 1-line block ×3, first 2 shown]
	s_wait_dscnt 0x0
	v_mul_f32_e32 v18, v175, v55
	v_mul_f32_e32 v20, v167, v57
	s_delay_alu instid0(VALU_DEP_2) | instskip(NEXT) | instid1(VALU_DEP_2)
	v_fmac_f32_e32 v18, v174, v54
	v_fmac_f32_e32 v20, v166, v56
	s_wait_loadcnt 0x0
	v_mul_f32_e32 v46, v7, v1
	s_delay_alu instid0(VALU_DEP_1) | instskip(SKIP_1) | instid1(VALU_DEP_1)
	v_fmac_f32_e32 v46, v6, v0
	v_mul_f32_e32 v0, v7, v0
	v_fma_f32 v48, v6, v1, -v0
	ds_load_2addr_b64 v[4:7], v105 offset0:92 offset1:217
	s_wait_dscnt 0x0
	v_mul_f32_e32 v47, v9, v5
	v_mul_f32_e32 v0, v9, v4
	s_delay_alu instid0(VALU_DEP_2) | instskip(NEXT) | instid1(VALU_DEP_2)
	v_fmac_f32_e32 v47, v8, v4
	v_fma_f32 v49, v8, v5, -v0
	scratch_load_b128 v[8:11], off, off offset:384 th:TH_LOAD_LU ; 16-byte Folded Reload
	s_wait_loadcnt 0x0
	v_mul_f32_e32 v0, v9, v2
	v_mul_f32_e32 v36, v9, v3
	;; [unrolled: 1-line block ×3, first 2 shown]
	s_delay_alu instid0(VALU_DEP_3) | instskip(SKIP_1) | instid1(VALU_DEP_4)
	v_fma_f32 v37, v8, v3, -v0
	v_mul_f32_e32 v0, v11, v6
	v_fmac_f32_e32 v36, v8, v2
	s_delay_alu instid0(VALU_DEP_4) | instskip(NEXT) | instid1(VALU_DEP_3)
	v_fmac_f32_e32 v38, v10, v6
	v_fma_f32 v39, v10, v7, -v0
	scratch_load_b128 v[6:9], off, off offset:368 th:TH_LOAD_LU ; 16-byte Folded Reload
	ds_load_2addr_b64 v[0:3], v126 offset0:74 offset1:199
	s_wait_loadcnt_dscnt 0x0
	v_mul_f32_e32 v50, v7, v1
	s_delay_alu instid0(VALU_DEP_1) | instskip(SKIP_1) | instid1(VALU_DEP_2)
	v_fmac_f32_e32 v50, v6, v0
	v_mul_f32_e32 v0, v7, v0
	v_sub_f32_e32 v65, v47, v50
	s_delay_alu instid0(VALU_DEP_2)
	v_fma_f32 v52, v6, v1, -v0
	ds_load_2addr_b64 v[4:7], v127 offset0:56 offset1:181
	v_sub_f32_e32 v62, v49, v52
	s_wait_dscnt 0x0
	v_mul_f32_e32 v51, v9, v5
	v_mul_f32_e32 v0, v9, v4
	s_delay_alu instid0(VALU_DEP_2) | instskip(NEXT) | instid1(VALU_DEP_2)
	v_fmac_f32_e32 v51, v8, v4
	v_fma_f32 v53, v8, v5, -v0
	scratch_load_b128 v[8:11], off, off offset:352 th:TH_LOAD_LU ; 16-byte Folded Reload
	v_dual_sub_f32 v64, v46, v51 :: v_dual_sub_f32 v63, v48, v53
	s_wait_loadcnt 0x0
	v_mul_f32_e32 v0, v9, v2
	v_mul_f32_e32 v34, v9, v3
	;; [unrolled: 1-line block ×4, first 2 shown]
	s_delay_alu instid0(VALU_DEP_4) | instskip(SKIP_4) | instid1(VALU_DEP_4)
	v_fma_f32 v35, v8, v3, -v0
	v_mul_f32_e32 v0, v11, v6
	v_fmac_f32_e32 v34, v8, v2
	v_fmac_f32_e32 v40, v10, v6
	;; [unrolled: 1-line block ×3, first 2 shown]
	v_fma_f32 v45, v10, v7, -v0
	ds_load_2addr_b64 v[0:3], v118 offset0:104 offset1:229
	ds_load_2addr_b64 v[4:7], v119 offset0:86 offset1:211
	s_wait_dscnt 0x1
	v_mul_f32_e32 v27, v169, v1
	v_mul_f32_e32 v22, v189, v3
	s_wait_dscnt 0x0
	v_mul_f32_e32 v30, v171, v5
	v_mul_f32_e32 v25, v191, v7
	v_fmac_f32_e32 v27, v168, v0
	v_mul_f32_e32 v0, v169, v0
	v_fmac_f32_e32 v22, v188, v2
	v_fmac_f32_e32 v30, v170, v4
	;; [unrolled: 1-line block ×3, first 2 shown]
	s_delay_alu instid0(VALU_DEP_4) | instskip(SKIP_1) | instid1(VALU_DEP_1)
	v_fma_f32 v29, v168, v1, -v0
	v_mul_f32_e32 v0, v171, v4
	v_fma_f32 v33, v170, v5, -v0
	v_mul_f32_e32 v0, v189, v2
	s_delay_alu instid0(VALU_DEP_1) | instskip(SKIP_1) | instid1(VALU_DEP_1)
	v_fma_f32 v23, v188, v3, -v0
	v_mul_f32_e32 v0, v191, v6
	v_fma_f32 v24, v190, v7, -v0
	ds_load_2addr_b64 v[0:3], v207 offset0:68 offset1:193
	ds_load_2addr_b64 v[4:7], v204 offset0:50 offset1:175
	s_wait_dscnt 0x1
	v_mul_f32_e32 v41, v161, v1
	v_mul_f32_e32 v26, v181, v3
	s_wait_dscnt 0x0
	v_mul_f32_e32 v32, v183, v7
	v_mul_f32_e32 v43, v163, v5
	v_fmac_f32_e32 v41, v160, v0
	v_mul_f32_e32 v0, v161, v0
	v_fmac_f32_e32 v26, v180, v2
	v_fmac_f32_e32 v32, v182, v6
	;; [unrolled: 1-line block ×3, first 2 shown]
	v_sub_f32_e32 v68, v30, v41
	v_fma_f32 v42, v160, v1, -v0
	v_mul_f32_e32 v0, v163, v4
	v_add_f32_e32 v4, v47, v50
	v_sub_f32_e32 v69, v27, v43
	s_delay_alu instid0(VALU_DEP_3) | instskip(SKIP_2) | instid1(VALU_DEP_2)
	v_fma_f32 v44, v162, v5, -v0
	v_mul_f32_e32 v0, v181, v2
	v_add_f32_e32 v5, v49, v52
	v_fma_f32 v28, v180, v3, -v0
	v_mul_f32_e32 v0, v183, v6
	s_delay_alu instid0(VALU_DEP_1) | instskip(SKIP_3) | instid1(VALU_DEP_1)
	v_fma_f32 v31, v182, v7, -v0
	ds_load_2addr_b64 v[0:3], v200 offset0:98 offset1:223
	s_wait_dscnt 0x0
	v_mul_f32_e32 v7, v177, v1
	v_dual_mul_f32 v6, v185, v3 :: v_dual_fmac_f32 v7, v176, v0
	v_mul_f32_e32 v0, v177, v0
	s_delay_alu instid0(VALU_DEP_2) | instskip(NEXT) | instid1(VALU_DEP_2)
	v_fmac_f32_e32 v6, v184, v2
	v_fma_f32 v8, v176, v1, -v0
	v_mul_f32_e32 v0, v179, v12
	v_mul_f32_e32 v12, v187, v15
	s_delay_alu instid0(VALU_DEP_2) | instskip(SKIP_1) | instid1(VALU_DEP_3)
	v_fma_f32 v13, v178, v13, -v0
	v_mul_f32_e32 v0, v185, v2
	v_fmac_f32_e32 v12, v186, v14
	s_delay_alu instid0(VALU_DEP_2) | instskip(SKIP_1) | instid1(VALU_DEP_1)
	v_fma_f32 v10, v184, v3, -v0
	v_mul_f32_e32 v0, v187, v14
	v_fma_f32 v11, v186, v15, -v0
	ds_load_2addr_b64 v[0:3], v220 offset0:62 offset1:187
	s_wait_dscnt 0x0
	v_mul_f32_e32 v15, v173, v1
	s_delay_alu instid0(VALU_DEP_1) | instskip(SKIP_1) | instid1(VALU_DEP_2)
	v_dual_mul_f32 v14, v165, v3 :: v_dual_fmac_f32 v15, v172, v0
	v_mul_f32_e32 v0, v173, v0
	v_fmac_f32_e32 v14, v164, v2
	s_delay_alu instid0(VALU_DEP_2) | instskip(SKIP_2) | instid1(VALU_DEP_2)
	v_fma_f32 v16, v172, v1, -v0
	v_mul_f32_e32 v0, v175, v54
	v_sub_f32_e32 v1, v51, v50
	v_fma_f32 v19, v174, v55, -v0
	v_dual_mul_f32 v0, v165, v2 :: v_dual_sub_f32 v55, v48, v49
	s_delay_alu instid0(VALU_DEP_1) | instskip(SKIP_2) | instid1(VALU_DEP_2)
	v_fma_f32 v17, v164, v3, -v0
	v_mul_f32_e32 v0, v167, v56
	v_sub_f32_e32 v56, v53, v52
	v_fma_f32 v21, v166, v57, -v0
	s_delay_alu instid0(VALU_DEP_2) | instskip(NEXT) | instid1(VALU_DEP_1)
	v_dual_sub_f32 v0, v46, v47 :: v_dual_add_f32 v55, v55, v56
	v_add_f32_e32 v54, v0, v1
	ds_load_2addr_b64 v[0:3], v196 offset1:125
	s_wait_dscnt 0x0
	v_dual_add_f32 v57, v1, v48 :: v_dual_add_f32 v56, v0, v46
	v_fma_f32 v4, -0.5, v4, v0
	v_fma_f32 v5, -0.5, v5, v1
	s_delay_alu instid0(VALU_DEP_3) | instskip(SKIP_1) | instid1(VALU_DEP_2)
	v_dual_add_f32 v57, v57, v49 :: v_dual_add_f32 v56, v56, v47
	v_dual_sub_f32 v49, v49, v48 :: v_dual_add_f32 v48, v48, v53
	v_dual_fmamk_f32 v58, v63, 0xbf737871, v4 :: v_dual_add_f32 v57, v57, v52
	v_sub_f32_e32 v52, v52, v53
	s_delay_alu instid0(VALU_DEP_4) | instskip(NEXT) | instid1(VALU_DEP_4)
	v_add_f32_e32 v56, v56, v50
	v_fma_f32 v1, -0.5, v48, v1
	v_fmamk_f32 v59, v64, 0x3f737871, v5
	v_add_f32_e32 v57, v57, v53
	v_add_f32_e32 v53, v46, v51
	;; [unrolled: 1-line block ×3, first 2 shown]
	v_dual_sub_f32 v46, v47, v46 :: v_dual_sub_f32 v51, v50, v51
	v_fmamk_f32 v61, v65, 0xbf737871, v1
	s_delay_alu instid0(VALU_DEP_4) | instskip(SKIP_1) | instid1(VALU_DEP_4)
	v_fma_f32 v0, -0.5, v53, v0
	v_dual_fmac_f32 v1, 0x3f737871, v65 :: v_dual_fmac_f32 v4, 0x3f737871, v63
	v_dual_fmac_f32 v5, 0xbf737871, v64 :: v_dual_add_f32 v66, v46, v51
	s_delay_alu instid0(VALU_DEP_3) | instskip(SKIP_3) | instid1(VALU_DEP_4)
	v_fmamk_f32 v60, v62, 0x3f737871, v0
	v_dual_fmac_f32 v0, 0xbf737871, v62 :: v_dual_add_f32 v67, v49, v52
	v_fmac_f32_e32 v58, 0xbf167918, v62
	v_fmac_f32_e32 v59, 0x3f167918, v65
	;; [unrolled: 1-line block ×3, first 2 shown]
	s_delay_alu instid0(VALU_DEP_4)
	v_dual_fmac_f32 v61, 0x3f167918, v64 :: v_dual_fmac_f32 v0, 0x3f167918, v63
	v_fmac_f32_e32 v1, 0xbf167918, v64
	v_fmac_f32_e32 v4, 0x3f167918, v62
	;; [unrolled: 1-line block ×3, first 2 shown]
	v_dual_fmac_f32 v58, 0x3e9e377a, v54 :: v_dual_fmac_f32 v59, 0x3e9e377a, v55
	v_dual_fmac_f32 v60, 0x3e9e377a, v66 :: v_dual_fmac_f32 v61, 0x3e9e377a, v67
	;; [unrolled: 1-line block ×3, first 2 shown]
	s_delay_alu instid0(VALU_DEP_4)
	v_dual_fmac_f32 v4, 0x3e9e377a, v54 :: v_dual_fmac_f32 v5, 0x3e9e377a, v55
	ds_load_2addr_b64 v[46:49], v208 offset0:122 offset1:247
	ds_load_2addr_b64 v[50:53], v199 offset0:116 offset1:241
	ds_store_b64 v196, v[58:59] offset:6000
	ds_store_b64 v196, v[60:61] offset:12000
	;; [unrolled: 1-line block ×4, first 2 shown]
	v_dual_add_f32 v0, v2, v36 :: v_dual_add_f32 v1, v3, v37
	v_dual_sub_f32 v4, v34, v40 :: v_dual_sub_f32 v5, v35, v45
	v_sub_f32_e32 v54, v33, v29
	s_delay_alu instid0(VALU_DEP_3) | instskip(SKIP_2) | instid1(VALU_DEP_3)
	v_dual_add_f32 v0, v0, v38 :: v_dual_add_f32 v1, v1, v39
	v_dual_sub_f32 v55, v42, v44 :: v_dual_sub_f32 v62, v39, v35
	v_sub_f32_e32 v64, v38, v34
	v_dual_add_f32 v0, v0, v34 :: v_dual_add_f32 v1, v1, v35
	s_delay_alu instid0(VALU_DEP_3) | instskip(NEXT) | instid1(VALU_DEP_2)
	v_dual_sub_f32 v66, v33, v42 :: v_dual_add_f32 v61, v54, v55
	v_dual_sub_f32 v63, v37, v45 :: v_dual_add_f32 v0, v0, v40
	s_delay_alu instid0(VALU_DEP_3) | instskip(SKIP_4) | instid1(VALU_DEP_1)
	v_add_f32_e32 v1, v1, v45
	v_sub_f32_e32 v65, v36, v40
	v_sub_f32_e32 v67, v29, v44
	ds_store_2addr_b64 v196, v[56:57], v[0:1] offset1:125
	v_dual_add_f32 v0, v38, v34 :: v_dual_add_f32 v1, v36, v40
	v_fma_f32 v0, -0.5, v0, v2
	s_delay_alu instid0(VALU_DEP_2) | instskip(SKIP_1) | instid1(VALU_DEP_2)
	v_fma_f32 v2, -0.5, v1, v2
	v_sub_f32_e32 v1, v38, v36
	v_fmamk_f32 v54, v62, 0x3f737871, v2
	s_delay_alu instid0(VALU_DEP_2) | instskip(SKIP_2) | instid1(VALU_DEP_4)
	v_dual_add_f32 v58, v1, v4 :: v_dual_add_f32 v1, v39, v35
	v_add_f32_e32 v4, v37, v45
	v_fmac_f32_e32 v2, 0xbf737871, v62
	v_fmac_f32_e32 v54, 0xbf167918, v63
	s_delay_alu instid0(VALU_DEP_4) | instskip(NEXT) | instid1(VALU_DEP_4)
	v_fma_f32 v1, -0.5, v1, v3
	v_dual_fmac_f32 v3, -0.5, v4 :: v_dual_sub_f32 v4, v39, v37
	s_delay_alu instid0(VALU_DEP_4) | instskip(NEXT) | instid1(VALU_DEP_4)
	v_fmac_f32_e32 v2, 0x3f167918, v63
	v_fmac_f32_e32 v54, 0x3e9e377a, v58
	s_delay_alu instid0(VALU_DEP_3) | instskip(NEXT) | instid1(VALU_DEP_4)
	v_fmamk_f32 v55, v64, 0xbf737871, v3
	v_dual_add_f32 v59, v4, v5 :: v_dual_sub_f32 v4, v30, v27
	v_sub_f32_e32 v5, v41, v43
	v_fmac_f32_e32 v3, 0x3f737871, v64
	v_fmac_f32_e32 v2, 0x3e9e377a, v58
	v_fmac_f32_e32 v55, 0x3f167918, v65
	s_delay_alu instid0(VALU_DEP_4) | instskip(SKIP_2) | instid1(VALU_DEP_4)
	v_add_f32_e32 v60, v4, v5
	v_dual_add_f32 v4, v27, v43 :: v_dual_add_f32 v5, v29, v44
	v_fmac_f32_e32 v3, 0xbf167918, v65
	v_fmac_f32_e32 v55, 0x3e9e377a, v59
	s_wait_dscnt 0x6
	s_delay_alu instid0(VALU_DEP_3) | instskip(SKIP_2) | instid1(VALU_DEP_3)
	v_fma_f32 v4, -0.5, v4, v46
	v_fma_f32 v5, -0.5, v5, v47
	v_fmac_f32_e32 v3, 0x3e9e377a, v59
	v_fmamk_f32 v56, v66, 0x3f737871, v4
	s_delay_alu instid0(VALU_DEP_3) | instskip(SKIP_1) | instid1(VALU_DEP_3)
	v_dual_fmac_f32 v4, 0xbf737871, v66 :: v_dual_fmamk_f32 v57, v68, 0xbf737871, v5
	v_fmac_f32_e32 v5, 0x3f737871, v68
	v_fmac_f32_e32 v56, 0xbf167918, v67
	s_delay_alu instid0(VALU_DEP_3) | instskip(NEXT) | instid1(VALU_DEP_3)
	v_dual_fmac_f32 v4, 0x3f167918, v67 :: v_dual_fmac_f32 v57, 0x3f167918, v69
	v_fmac_f32_e32 v5, 0xbf167918, v69
	s_delay_alu instid0(VALU_DEP_3) | instskip(NEXT) | instid1(VALU_DEP_3)
	v_fmac_f32_e32 v56, 0x3e9e377a, v60
	v_dual_fmac_f32 v4, 0x3e9e377a, v60 :: v_dual_fmac_f32 v57, 0x3e9e377a, v61
	s_delay_alu instid0(VALU_DEP_3) | instskip(SKIP_4) | instid1(VALU_DEP_2)
	v_fmac_f32_e32 v5, 0x3e9e377a, v61
	ds_store_2addr_b64 v74, v[2:3], v[4:5] offset0:71 offset1:196
	v_sub_f32_e32 v2, v36, v38
	v_dual_sub_f32 v3, v40, v34 :: v_dual_sub_f32 v4, v37, v39
	v_dual_sub_f32 v5, v45, v35 :: v_dual_add_nc_u32 v40, 0x1800, v196
	v_add_f32_e32 v36, v2, v3
	v_sub_f32_e32 v2, v27, v30
	v_sub_f32_e32 v3, v43, v41
	s_delay_alu instid0(VALU_DEP_4) | instskip(SKIP_1) | instid1(VALU_DEP_3)
	v_add_f32_e32 v37, v4, v5
	v_dual_sub_f32 v4, v29, v33 :: v_dual_sub_f32 v5, v44, v42
	v_add_f32_e32 v38, v2, v3
	v_dual_add_f32 v2, v30, v41 :: v_dual_add_f32 v3, v33, v42
	s_delay_alu instid0(VALU_DEP_3) | instskip(SKIP_1) | instid1(VALU_DEP_3)
	v_dual_add_f32 v39, v4, v5 :: v_dual_fmamk_f32 v4, v63, 0xbf737871, v0
	v_fmamk_f32 v5, v65, 0x3f737871, v1
	v_fma_f32 v2, -0.5, v2, v46
	s_delay_alu instid0(VALU_DEP_4)
	v_fma_f32 v3, -0.5, v3, v47
	v_fmac_f32_e32 v0, 0x3f737871, v63
	v_fmac_f32_e32 v4, 0xbf167918, v62
	;; [unrolled: 1-line block ×3, first 2 shown]
	v_fmamk_f32 v34, v67, 0xbf737871, v2
	v_fmamk_f32 v35, v69, 0x3f737871, v3
	v_fmac_f32_e32 v1, 0xbf737871, v65
	s_delay_alu instid0(VALU_DEP_4) | instskip(NEXT) | instid1(VALU_DEP_4)
	v_dual_fmac_f32 v4, 0x3e9e377a, v36 :: v_dual_fmac_f32 v5, 0x3e9e377a, v37
	v_fmac_f32_e32 v34, 0xbf167918, v66
	s_delay_alu instid0(VALU_DEP_4) | instskip(SKIP_3) | instid1(VALU_DEP_4)
	v_fmac_f32_e32 v35, 0x3f167918, v68
	v_fmac_f32_e32 v2, 0x3f737871, v67
	v_fmac_f32_e32 v3, 0xbf737871, v69
	v_fmac_f32_e32 v0, 0x3f167918, v62
	v_dual_fmac_f32 v34, 0x3e9e377a, v38 :: v_dual_fmac_f32 v35, 0x3e9e377a, v39
	v_fmac_f32_e32 v1, 0xbf167918, v64
	v_fmac_f32_e32 v2, 0x3f167918, v66
	;; [unrolled: 1-line block ×4, first 2 shown]
	ds_store_2addr_b64 v40, v[4:5], v[34:35] offset0:107 offset1:232
	v_add_nc_u32_e32 v4, 0x3000, v196
	v_dual_fmac_f32 v1, 0x3e9e377a, v37 :: v_dual_fmac_f32 v2, 0x3e9e377a, v38
	v_fmac_f32_e32 v3, 0x3e9e377a, v39
	v_sub_f32_e32 v5, v23, v31
	ds_store_2addr_b64 v4, v[54:55], v[56:57] offset0:89 offset1:214
	v_add_nc_u32_e32 v4, 0x6000, v196
	s_wait_dscnt 0x8
	v_add_f32_e32 v34, v52, v6
	v_add_f32_e32 v36, v53, v10
	v_sub_f32_e32 v38, v11, v17
	v_sub_f32_e32 v40, v12, v14
	ds_store_2addr_b64 v4, v[0:1], v[2:3] offset0:53 offset1:178
	v_dual_add_f32 v0, v46, v27 :: v_dual_add_f32 v1, v47, v29
	v_dual_add_f32 v2, v48, v22 :: v_dual_add_f32 v3, v49, v23
	v_sub_f32_e32 v4, v28, v31
	s_delay_alu instid0(VALU_DEP_3) | instskip(NEXT) | instid1(VALU_DEP_3)
	v_dual_add_f32 v0, v0, v30 :: v_dual_add_f32 v1, v1, v33
	v_dual_add_f32 v2, v2, v25 :: v_dual_add_f32 v3, v3, v24
	v_sub_f32_e32 v29, v24, v28
	s_delay_alu instid0(VALU_DEP_3) | instskip(NEXT) | instid1(VALU_DEP_3)
	;; [unrolled: 4-line block ×3, first 2 shown]
	v_dual_add_f32 v0, v0, v43 :: v_dual_add_f32 v1, v1, v44
	v_dual_add_f32 v2, v2, v32 :: v_dual_add_f32 v3, v3, v31
	v_sub_f32_e32 v39, v10, v21
	v_sub_f32_e32 v41, v6, v20
	ds_store_2addr_b64 v208, v[0:1], v[2:3] offset0:122 offset1:247
	v_dual_add_f32 v0, v25, v26 :: v_dual_add_f32 v1, v22, v32
	v_sub_f32_e32 v2, v26, v32
	v_sub_f32_e32 v26, v32, v26
	s_delay_alu instid0(VALU_DEP_3) | instskip(NEXT) | instid1(VALU_DEP_4)
	v_fma_f32 v0, -0.5, v0, v48
	v_fma_f32 v48, -0.5, v1, v48
	v_sub_f32_e32 v1, v25, v22
	v_sub_f32_e32 v25, v22, v25
	s_delay_alu instid0(VALU_DEP_2) | instskip(SKIP_1) | instid1(VALU_DEP_1)
	v_dual_sub_f32 v22, v22, v32 :: v_dual_add_f32 v3, v1, v2
	v_dual_add_f32 v1, v24, v28 :: v_dual_add_f32 v2, v23, v31
	v_fma_f32 v1, -0.5, v1, v49
	s_delay_alu instid0(VALU_DEP_2)
	v_dual_fmac_f32 v49, -0.5, v2 :: v_dual_sub_f32 v2, v24, v23
	v_sub_f32_e32 v23, v23, v24
	v_sub_f32_e32 v24, v31, v28
	v_sub_f32_e32 v28, v8, v19
	v_sub_f32_e32 v31, v9, v15
	v_dual_add_f32 v27, v2, v4 :: v_dual_fmamk_f32 v2, v29, 0x3f737871, v48
	v_fmac_f32_e32 v48, 0xbf737871, v29
	v_fmamk_f32 v4, v5, 0xbf737871, v0
	v_dual_fmac_f32 v0, 0x3f737871, v5 :: v_dual_add_f32 v23, v23, v24
	s_delay_alu instid0(VALU_DEP_4) | instskip(NEXT) | instid1(VALU_DEP_4)
	v_fmac_f32_e32 v2, 0xbf167918, v5
	v_fmac_f32_e32 v48, 0x3f167918, v5
	v_fmamk_f32 v5, v22, 0x3f737871, v1
	v_fmac_f32_e32 v1, 0xbf737871, v22
	v_fmac_f32_e32 v0, 0x3f167918, v29
	;; [unrolled: 1-line block ×4, first 2 shown]
	v_fmamk_f32 v3, v30, 0xbf737871, v49
	v_fmac_f32_e32 v49, 0x3f737871, v30
	v_fmac_f32_e32 v1, 0xbf167918, v30
	;; [unrolled: 1-line block ×3, first 2 shown]
	v_sub_f32_e32 v30, v7, v18
	v_fmac_f32_e32 v3, 0x3f167918, v22
	v_fmac_f32_e32 v49, 0xbf167918, v22
	v_dual_add_f32 v22, v25, v26 :: v_dual_fmac_f32 v1, 0x3e9e377a, v23
	v_fmac_f32_e32 v4, 0xbf167918, v29
	s_delay_alu instid0(VALU_DEP_4) | instskip(NEXT) | instid1(VALU_DEP_3)
	v_fmac_f32_e32 v3, 0x3e9e377a, v27
	v_dual_fmac_f32 v49, 0x3e9e377a, v27 :: v_dual_fmac_f32 v0, 0x3e9e377a, v22
	ds_store_b64 v196, v[48:49] offset:21000
	ds_store_b64 v196, v[2:3] offset:15000
	;; [unrolled: 1-line block ×3, first 2 shown]
	v_dual_sub_f32 v0, v7, v9 :: v_dual_sub_f32 v1, v18, v15
	v_dual_sub_f32 v2, v8, v13 :: v_dual_sub_f32 v3, v19, v16
	v_dual_sub_f32 v29, v13, v16 :: v_dual_fmac_f32 v4, 0x3e9e377a, v22
	s_delay_alu instid0(VALU_DEP_3)
	v_add_f32_e32 v26, v0, v1
	v_add_f32_e32 v0, v9, v15
	;; [unrolled: 1-line block ×4, first 2 shown]
	v_fmac_f32_e32 v5, 0x3e9e377a, v23
	v_add_nc_u32_e32 v22, 0x2000, v196
	v_fma_f32 v0, -0.5, v0, v50
	v_fma_f32 v1, -0.5, v1, v51
	s_delay_alu instid0(VALU_DEP_2) | instskip(NEXT) | instid1(VALU_DEP_2)
	v_dual_sub_f32 v23, v14, v20 :: v_dual_fmamk_f32 v2, v28, 0xbf737871, v0
	v_dual_fmamk_f32 v3, v30, 0x3f737871, v1 :: v_dual_fmac_f32 v0, 0x3f737871, v28
	v_fmac_f32_e32 v1, 0xbf737871, v30
	s_delay_alu instid0(VALU_DEP_3) | instskip(NEXT) | instid1(VALU_DEP_3)
	v_fmac_f32_e32 v2, 0xbf167918, v29
	v_dual_fmac_f32 v3, 0x3f167918, v31 :: v_dual_fmac_f32 v0, 0x3f167918, v29
	s_delay_alu instid0(VALU_DEP_3) | instskip(NEXT) | instid1(VALU_DEP_2)
	v_fmac_f32_e32 v1, 0xbf167918, v31
	v_dual_fmac_f32 v2, 0x3e9e377a, v26 :: v_dual_fmac_f32 v3, 0x3e9e377a, v27
	s_delay_alu instid0(VALU_DEP_2) | instskip(SKIP_4) | instid1(VALU_DEP_3)
	v_dual_fmac_f32 v0, 0x3e9e377a, v26 :: v_dual_fmac_f32 v1, 0x3e9e377a, v27
	ds_store_2addr_b64 v22, v[4:5], v[2:3] offset0:101 offset1:226
	v_dual_sub_f32 v4, v13, v8 :: v_dual_sub_f32 v5, v16, v19
	v_dual_sub_f32 v2, v9, v7 :: v_dual_sub_f32 v3, v15, v18
	v_sub_f32_e32 v22, v12, v6
	v_add_f32_e32 v33, v4, v5
	v_dual_add_f32 v4, v12, v14 :: v_dual_add_f32 v5, v6, v20
	s_delay_alu instid0(VALU_DEP_4) | instskip(SKIP_1) | instid1(VALU_DEP_3)
	v_add_f32_e32 v32, v2, v3
	v_dual_add_f32 v2, v7, v18 :: v_dual_add_f32 v3, v8, v19
	v_fma_f32 v4, -0.5, v4, v52
	s_delay_alu instid0(VALU_DEP_4)
	v_fma_f32 v52, -0.5, v5, v52
	v_add_f32_e32 v5, v11, v17
	v_add_f32_e32 v35, v22, v23
	;; [unrolled: 1-line block ×3, first 2 shown]
	v_fma_f32 v2, -0.5, v2, v50
	v_fma_f32 v3, -0.5, v3, v51
	;; [unrolled: 1-line block ×3, first 2 shown]
	v_sub_f32_e32 v23, v17, v21
	v_fmac_f32_e32 v53, -0.5, v22
	v_sub_f32_e32 v22, v11, v10
	v_fmamk_f32 v24, v38, 0x3f737871, v52
	v_fmac_f32_e32 v52, 0xbf737871, v38
	s_delay_alu instid0(VALU_DEP_4) | instskip(NEXT) | instid1(VALU_DEP_4)
	v_dual_sub_f32 v6, v6, v12 :: v_dual_fmamk_f32 v25, v40, 0xbf737871, v53
	v_dual_add_f32 v37, v22, v23 :: v_dual_fmamk_f32 v22, v29, 0x3f737871, v2
	v_dual_fmac_f32 v2, 0xbf737871, v29 :: v_dual_fmamk_f32 v23, v31, 0xbf737871, v3
	v_fmac_f32_e32 v3, 0x3f737871, v31
	v_fmac_f32_e32 v53, 0x3f737871, v40
	;; [unrolled: 1-line block ×3, first 2 shown]
	s_delay_alu instid0(VALU_DEP_4) | instskip(NEXT) | instid1(VALU_DEP_4)
	v_fmac_f32_e32 v2, 0x3f167918, v28
	v_dual_fmac_f32 v22, 0xbf167918, v28 :: v_dual_fmac_f32 v3, 0xbf167918, v30
	s_delay_alu instid0(VALU_DEP_4) | instskip(NEXT) | instid1(VALU_DEP_4)
	v_fmac_f32_e32 v53, 0xbf167918, v41
	v_fmac_f32_e32 v52, 0x3e9e377a, v35
	s_delay_alu instid0(VALU_DEP_4)
	v_fmac_f32_e32 v2, 0x3e9e377a, v32
	v_fmac_f32_e32 v23, 0x3f167918, v30
	;; [unrolled: 1-line block ×6, first 2 shown]
	v_dual_fmac_f32 v22, 0x3e9e377a, v32 :: v_dual_fmac_f32 v23, 0x3e9e377a, v33
	ds_store_2addr_b64 v220, v[2:3], v[52:53] offset0:62 offset1:187
	v_dual_add_f32 v2, v50, v7 :: v_dual_add_f32 v3, v51, v8
	v_dual_add_f32 v7, v34, v12 :: v_dual_add_f32 v8, v36, v11
	v_fmac_f32_e32 v24, 0x3e9e377a, v35
	s_delay_alu instid0(VALU_DEP_3) | instskip(NEXT) | instid1(VALU_DEP_4)
	v_add_f32_e32 v2, v2, v9
	v_add_f32_e32 v3, v3, v13
	s_delay_alu instid0(VALU_DEP_4) | instskip(NEXT) | instid1(VALU_DEP_3)
	v_dual_add_f32 v7, v7, v14 :: v_dual_add_f32 v8, v8, v17
	v_dual_sub_f32 v9, v21, v17 :: v_dual_add_f32 v2, v2, v15
	s_delay_alu instid0(VALU_DEP_3) | instskip(NEXT) | instid1(VALU_DEP_3)
	v_add_f32_e32 v3, v3, v16
	v_dual_add_f32 v7, v7, v20 :: v_dual_add_f32 v8, v8, v21
	s_delay_alu instid0(VALU_DEP_3) | instskip(NEXT) | instid1(VALU_DEP_3)
	v_dual_fmac_f32 v25, 0x3e9e377a, v37 :: v_dual_add_f32 v2, v2, v18
	v_add_f32_e32 v3, v3, v19
	ds_store_2addr_b64 v198, v[22:23], v[24:25] offset0:80 offset1:205
	ds_store_2addr_b64 v199, v[2:3], v[7:8] offset0:116 offset1:241
	v_dual_sub_f32 v7, v20, v14 :: v_dual_fmamk_f32 v2, v39, 0xbf737871, v4
	v_fmac_f32_e32 v4, 0x3f737871, v39
	v_dual_sub_f32 v8, v10, v11 :: v_dual_fmamk_f32 v3, v41, 0x3f737871, v5
	s_delay_alu instid0(VALU_DEP_3) | instskip(NEXT) | instid1(VALU_DEP_2)
	v_dual_fmac_f32 v5, 0xbf737871, v41 :: v_dual_add_f32 v6, v6, v7
	v_dual_fmac_f32 v4, 0x3f167918, v38 :: v_dual_add_f32 v7, v8, v9
	s_delay_alu instid0(VALU_DEP_2) | instskip(NEXT) | instid1(VALU_DEP_4)
	v_dual_fmac_f32 v2, 0xbf167918, v38 :: v_dual_fmac_f32 v5, 0xbf167918, v40
	v_fmac_f32_e32 v3, 0x3f167918, v40
	s_delay_alu instid0(VALU_DEP_3) | instskip(NEXT) | instid1(VALU_DEP_3)
	v_fmac_f32_e32 v4, 0x3e9e377a, v6
	v_dual_fmac_f32 v2, 0x3e9e377a, v6 :: v_dual_fmac_f32 v5, 0x3e9e377a, v7
	s_delay_alu instid0(VALU_DEP_3)
	v_fmac_f32_e32 v3, 0x3e9e377a, v7
	ds_store_2addr_b64 v197, v[0:1], v[4:5] offset0:44 offset1:169
	ds_store_b64 v196, v[2:3] offset:11000
	global_wb scope:SCOPE_SE
	s_wait_dscnt 0x0
	s_barrier_signal -1
	s_barrier_wait -1
	global_inv scope:SCOPE_SE
	scratch_load_b64 v[5:6], off, off offset:240 th:TH_LOAD_LU ; 8-byte Folded Reload
	ds_load_2addr_b64 v[1:4], v196 offset1:125
	s_clause 0x9
	scratch_load_b64 v[9:10], off, off offset:224 th:TH_LOAD_LU
	scratch_load_b64 v[14:15], off, off offset:192 th:TH_LOAD_LU
	;; [unrolled: 1-line block ×10, first 2 shown]
	s_wait_loadcnt_dscnt 0xa00
	v_mul_f32_e32 v0, v6, v2
	s_delay_alu instid0(VALU_DEP_1) | instskip(SKIP_1) | instid1(VALU_DEP_1)
	v_fmac_f32_e32 v0, v5, v1
	v_mul_f32_e32 v1, v6, v1
	v_fma_f32 v2, v5, v2, -v1
	scratch_load_b64 v[5:6], off, off offset:232 th:TH_LOAD_LU ; 8-byte Folded Reload
	v_cvt_f64_f32_e32 v[44:45], v2
	s_wait_loadcnt 0x0
	v_mul_f32_e32 v1, v6, v4
	s_delay_alu instid0(VALU_DEP_1) | instskip(SKIP_1) | instid1(VALU_DEP_1)
	v_fmac_f32_e32 v1, v5, v3
	v_mul_f32_e32 v3, v6, v3
	v_fma_f32 v3, v5, v4, -v3
	ds_load_2addr_b64 v[5:8], v200 offset0:98 offset1:223
	s_wait_dscnt 0x0
	v_mul_f32_e32 v4, v10, v6
	s_delay_alu instid0(VALU_DEP_1) | instskip(SKIP_1) | instid1(VALU_DEP_1)
	v_fmac_f32_e32 v4, v9, v5
	v_mul_f32_e32 v5, v10, v5
	v_fma_f32 v5, v9, v6, -v5
	scratch_load_b64 v[9:10], off, off offset:216 th:TH_LOAD_LU ; 8-byte Folded Reload
	s_wait_loadcnt 0x0
	v_mul_f32_e32 v6, v10, v8
	s_delay_alu instid0(VALU_DEP_1) | instskip(SKIP_1) | instid1(VALU_DEP_1)
	v_fmac_f32_e32 v6, v9, v7
	v_mul_f32_e32 v7, v10, v7
	v_fma_f32 v11, v9, v8, -v7
	ds_load_2addr_b64 v[7:10], v207 offset0:68 offset1:193
	s_wait_dscnt 0x0
	v_mul_f32_e32 v13, v15, v8
	s_delay_alu instid0(VALU_DEP_1) | instskip(SKIP_4) | instid1(VALU_DEP_1)
	v_fmac_f32_e32 v13, v14, v7
	v_mul_f32_e32 v7, v15, v7
	scratch_load_b64 v[15:16], off, off offset:200 th:TH_LOAD_LU ; 8-byte Folded Reload
	v_cvt_f64_f32_e32 v[46:47], v13
	v_fma_f32 v14, v14, v8, -v7
	v_cvt_f64_f32_e32 v[13:14], v14
	s_wait_loadcnt 0x0
	v_mul_f32_e32 v8, v16, v10
	v_mul_f32_e32 v7, v16, v9
	s_delay_alu instid0(VALU_DEP_2) | instskip(NEXT) | instid1(VALU_DEP_2)
	v_fmac_f32_e32 v8, v15, v9
	v_fma_f32 v10, v15, v10, -v7
	ds_load_2addr_b64 v[15:18], v208 offset0:122 offset1:247
	s_wait_dscnt 0x0
	v_mul_f32_e32 v7, v20, v16
	v_mul_f32_e32 v9, v20, v15
	s_delay_alu instid0(VALU_DEP_2) | instskip(NEXT) | instid1(VALU_DEP_2)
	v_fmac_f32_e32 v7, v19, v15
	v_fma_f32 v9, v19, v16, -v9
	scratch_load_b64 v[19:20], off, off offset:184 th:TH_LOAD_LU ; 8-byte Folded Reload
	s_wait_loadcnt 0x0
	v_mul_f32_e32 v12, v20, v18
	v_mul_f32_e32 v15, v20, v17
	s_delay_alu instid0(VALU_DEP_2) | instskip(NEXT) | instid1(VALU_DEP_2)
	v_fmac_f32_e32 v12, v19, v17
	v_fma_f32 v16, v19, v18, -v15
	ds_load_2addr_b64 v[17:20], v105 offset0:92 offset1:217
	s_wait_dscnt 0x0
	v_mul_f32_e32 v21, v23, v18
	v_mul_f32_e32 v15, v23, v17
	s_delay_alu instid0(VALU_DEP_2) | instskip(NEXT) | instid1(VALU_DEP_2)
	v_fmac_f32_e32 v21, v22, v17
	v_fma_f32 v23, v22, v18, -v15
	v_mul_f32_e32 v15, v25, v20
	v_mul_f32_e32 v17, v25, v19
	ds_load_2addr_b64 v[25:28], v220 offset0:62 offset1:187
	v_fmac_f32_e32 v15, v24, v19
	v_fma_f32 v19, v24, v20, -v17
	s_wait_dscnt 0x0
	v_mul_f32_e32 v24, v30, v26
	v_mul_f32_e32 v17, v30, v25
	s_delay_alu instid0(VALU_DEP_2) | instskip(NEXT) | instid1(VALU_DEP_2)
	v_fmac_f32_e32 v24, v29, v25
	v_fma_f32 v25, v29, v26, -v17
	scratch_load_b64 v[29:30], off, off offset:152 th:TH_LOAD_LU ; 8-byte Folded Reload
	s_wait_loadcnt 0x0
	v_mul_f32_e32 v18, v30, v28
	v_mul_f32_e32 v17, v30, v27
	s_delay_alu instid0(VALU_DEP_2) | instskip(NEXT) | instid1(VALU_DEP_2)
	v_fmac_f32_e32 v18, v29, v27
	v_fma_f32 v22, v29, v28, -v17
	ds_load_2addr_b64 v[27:30], v199 offset0:116 offset1:241
	s_wait_dscnt 0x0
	v_mul_f32_e32 v17, v32, v28
	v_mul_f32_e32 v20, v32, v27
	s_delay_alu instid0(VALU_DEP_2) | instskip(NEXT) | instid1(VALU_DEP_2)
	v_fmac_f32_e32 v17, v31, v27
	v_fma_f32 v20, v31, v28, -v20
	scratch_load_b64 v[31:32], off, off offset:120 th:TH_LOAD_LU ; 8-byte Folded Reload
	s_wait_loadcnt 0x0
	v_mul_f32_e32 v28, v32, v30
	v_mul_f32_e32 v26, v32, v29
	s_delay_alu instid0(VALU_DEP_2) | instskip(NEXT) | instid1(VALU_DEP_2)
	v_fmac_f32_e32 v28, v31, v29
	v_fma_f32 v26, v31, v30, -v26
	ds_load_2addr_b64 v[29:32], v119 offset0:86 offset1:211
	s_wait_dscnt 0x0
	v_mul_f32_e32 v36, v34, v30
	v_mul_f32_e32 v27, v34, v29
	s_delay_alu instid0(VALU_DEP_2) | instskip(NEXT) | instid1(VALU_DEP_2)
	v_fmac_f32_e32 v36, v33, v29
	v_fma_f32 v37, v33, v30, -v27
	scratch_load_b64 v[33:34], off, off offset:112 th:TH_LOAD_LU ; 8-byte Folded Reload
	v_cvt_f64_f32_e32 v[48:49], v36
	v_cvt_f64_f32_e32 v[36:37], v37
	s_wait_loadcnt 0x0
	v_mul_f32_e32 v27, v34, v32
	v_mul_f32_e32 v29, v34, v31
	s_delay_alu instid0(VALU_DEP_2) | instskip(NEXT) | instid1(VALU_DEP_2)
	v_fmac_f32_e32 v27, v33, v31
	v_fma_f32 v29, v33, v32, -v29
	ds_load_2addr_b64 v[30:33], v127 offset0:56 offset1:181
	s_wait_dscnt 0x0
	v_mul_f32_e32 v34, v39, v31
	s_delay_alu instid0(VALU_DEP_1) | instskip(SKIP_1) | instid1(VALU_DEP_1)
	v_fmac_f32_e32 v34, v38, v30
	v_mul_f32_e32 v30, v39, v30
	v_fma_f32 v35, v38, v31, -v30
	scratch_load_b64 v[38:39], off, off offset:136 th:TH_LOAD_LU ; 8-byte Folded Reload
	s_wait_loadcnt 0x0
	v_mul_f32_e32 v30, v39, v33
	v_mul_f32_e32 v31, v39, v32
	s_delay_alu instid0(VALU_DEP_2) | instskip(NEXT) | instid1(VALU_DEP_2)
	v_fmac_f32_e32 v30, v38, v32
	v_fma_f32 v33, v38, v33, -v31
	ds_load_2addr_b64 v[38:41], v104 offset0:110 offset1:235
	s_wait_dscnt 0x0
	v_mul_f32_e32 v31, v43, v39
	v_mul_f32_e32 v32, v43, v38
	s_delay_alu instid0(VALU_DEP_2) | instskip(NEXT) | instid1(VALU_DEP_2)
	v_fmac_f32_e32 v31, v42, v38
	v_fma_f32 v32, v42, v39, -v32
	scratch_load_b64 v[42:43], off, off offset:88 th:TH_LOAD_LU ; 8-byte Folded Reload
	s_wait_loadcnt 0x0
	v_mul_f32_e32 v50, v43, v41
	v_mul_f32_e32 v38, v43, v40
	s_delay_alu instid0(VALU_DEP_2) | instskip(NEXT) | instid1(VALU_DEP_2)
	v_fmac_f32_e32 v50, v42, v40
	v_fma_f32 v51, v42, v41, -v38
	scratch_load_b64 v[42:43], off, off offset:64 th:TH_LOAD_LU ; 8-byte Folded Reload
	ds_load_2addr_b64 v[38:41], v198 offset0:80 offset1:205
	s_wait_loadcnt_dscnt 0x0
	v_mul_f32_e32 v52, v43, v39
	s_delay_alu instid0(VALU_DEP_1) | instskip(SKIP_1) | instid1(VALU_DEP_1)
	v_fmac_f32_e32 v52, v42, v38
	v_mul_f32_e32 v38, v43, v38
	v_fma_f32 v53, v42, v39, -v38
	scratch_load_b64 v[38:39], off, off offset:80 th:TH_LOAD_LU ; 8-byte Folded Reload
	s_wait_loadcnt 0x0
	v_mul_f32_e32 v54, v39, v41
	v_dual_mov_b32 v43, v39 :: v_dual_mov_b32 v42, v38
	s_delay_alu instid0(VALU_DEP_2) | instskip(NEXT) | instid1(VALU_DEP_2)
	v_fmac_f32_e32 v54, v38, v40
	v_mul_f32_e32 v38, v43, v40
	s_delay_alu instid0(VALU_DEP_1) | instskip(SKIP_4) | instid1(VALU_DEP_1)
	v_fma_f32 v55, v42, v41, -v38
	scratch_load_b64 v[42:43], off, off offset:40 th:TH_LOAD_LU ; 8-byte Folded Reload
	ds_load_2addr_b64 v[38:41], v204 offset0:50 offset1:175
	s_wait_loadcnt_dscnt 0x0
	v_mul_f32_e32 v56, v43, v39
	v_fmac_f32_e32 v56, v42, v38
	v_mul_f32_e32 v38, v43, v38
	s_delay_alu instid0(VALU_DEP_1) | instskip(SKIP_4) | instid1(VALU_DEP_2)
	v_fma_f32 v57, v42, v39, -v38
	scratch_load_b64 v[42:43], off, off offset:56 th:TH_LOAD_LU ; 8-byte Folded Reload
	s_wait_loadcnt 0x0
	v_mul_f32_e32 v58, v43, v41
	v_mul_f32_e32 v38, v43, v40
	v_fmac_f32_e32 v58, v42, v40
	s_delay_alu instid0(VALU_DEP_2) | instskip(SKIP_4) | instid1(VALU_DEP_1)
	v_fma_f32 v59, v42, v41, -v38
	scratch_load_b64 v[42:43], off, off offset:72 th:TH_LOAD_LU ; 8-byte Folded Reload
	ds_load_2addr_b64 v[38:41], v118 offset0:104 offset1:229
	s_wait_loadcnt_dscnt 0x0
	v_mul_f32_e32 v60, v43, v39
	v_fmac_f32_e32 v60, v42, v38
	v_mul_f32_e32 v38, v43, v38
	s_delay_alu instid0(VALU_DEP_1) | instskip(SKIP_4) | instid1(VALU_DEP_2)
	v_fma_f32 v61, v42, v39, -v38
	scratch_load_b64 v[42:43], off, off offset:48 th:TH_LOAD_LU ; 8-byte Folded Reload
	s_wait_loadcnt 0x0
	v_mul_f32_e32 v62, v43, v41
	v_mul_f32_e32 v38, v43, v40
	v_fmac_f32_e32 v62, v42, v40
	s_delay_alu instid0(VALU_DEP_2) | instskip(SKIP_4) | instid1(VALU_DEP_1)
	;; [unrolled: 15-line block ×3, first 2 shown]
	v_fma_f32 v67, v42, v41, -v38
	scratch_load_b64 v[42:43], off, off offset:16 th:TH_LOAD_LU ; 8-byte Folded Reload
	ds_load_2addr_b64 v[38:41], v197 offset0:44 offset1:169
	s_wait_loadcnt_dscnt 0x0
	v_mul_f32_e32 v68, v43, v39
	v_fmac_f32_e32 v68, v42, v38
	v_mul_f32_e32 v38, v43, v38
	s_delay_alu instid0(VALU_DEP_1) | instskip(SKIP_4) | instid1(VALU_DEP_2)
	v_fma_f32 v69, v42, v39, -v38
	scratch_load_b64 v[42:43], off, off offset:24 th:TH_LOAD_LU ; 8-byte Folded Reload
	s_wait_loadcnt 0x0
	v_mul_f32_e32 v70, v43, v41
	v_mul_f32_e32 v38, v43, v40
	v_fmac_f32_e32 v70, v42, v40
	s_delay_alu instid0(VALU_DEP_2)
	v_fma_f32 v71, v42, v41, -v38
	s_clause 0x1
	scratch_load_b64 v[40:41], off, off th:TH_LOAD_LU
	scratch_load_b32 v42, off, off offset:248 th:TH_LOAD_LU
	s_wait_loadcnt 0x1
	v_mad_co_u64_u32 v[38:39], null, s6, v40, 0
	s_delay_alu instid0(VALU_DEP_1) | instskip(SKIP_3) | instid1(VALU_DEP_2)
	v_mad_co_u64_u32 v[39:40], null, s7, v40, v[39:40]
	s_wait_loadcnt 0x0
	v_mad_co_u64_u32 v[40:41], null, s4, v42, 0
	s_mul_u64 s[6:7], s[4:5], 0x2710
	v_lshlrev_b64_e32 v[38:39], 3, v[38:39]
	s_delay_alu instid0(VALU_DEP_2) | instskip(SKIP_1) | instid1(VALU_DEP_3)
	v_mad_co_u64_u32 v[41:42], null, s5, v42, v[41:42]
	v_cvt_f64_f32_e32 v[42:43], v0
	v_add_co_u32 v0, vcc_lo, s0, v38
	s_wait_alu 0xfffd
	s_delay_alu instid0(VALU_DEP_4) | instskip(NEXT) | instid1(VALU_DEP_4)
	v_add_co_ci_u32_e32 v2, vcc_lo, s1, v39, vcc_lo
	v_lshlrev_b64_e32 v[40:41], 3, v[40:41]
	s_mov_b32 s0, 0x9cbd821e
	s_mov_b32 s1, 0x3f3179ec
	s_wait_alu 0xfffe
	v_mul_f64_e32 v[44:45], s[0:1], v[44:45]
	v_mul_f64_e32 v[13:14], s[0:1], v[13:14]
	v_add_co_u32 v38, vcc_lo, v0, v40
	s_wait_alu 0xfffd
	v_add_co_ci_u32_e32 v39, vcc_lo, v2, v41, vcc_lo
	v_cvt_f64_f32_e32 v[40:41], v4
	v_cvt_f64_f32_e32 v[4:5], v5
	v_cvt_f64_f32_e32 v[0:1], v1
	v_cvt_f64_f32_e32 v[2:3], v3
	v_mul_f64_e32 v[36:37], s[0:1], v[36:37]
	v_mul_f64_e32 v[42:43], s[0:1], v[42:43]
	;; [unrolled: 1-line block ×6, first 2 shown]
	v_cvt_f32_f64_e32 v42, v[42:43]
	v_cvt_f32_f64_e32 v43, v[44:45]
	v_mul_f64_e32 v[44:45], s[0:1], v[46:47]
	v_cvt_f64_f32_e32 v[46:47], v11
	v_cvt_f64_f32_e32 v[10:11], v10
	v_cvt_f32_f64_e32 v40, v[40:41]
	v_cvt_f32_f64_e32 v41, v[4:5]
	v_cvt_f64_f32_e32 v[4:5], v6
	v_cvt_f32_f64_e32 v0, v[0:1]
	v_cvt_f32_f64_e32 v1, v[2:3]
	v_cvt_f64_f32_e32 v[2:3], v7
	v_cvt_f64_f32_e32 v[6:7], v9
	global_store_b64 v[38:39], v[42:43], off
	v_cvt_f32_f64_e32 v44, v[44:45]
	v_cvt_f32_f64_e32 v45, v[13:14]
	v_cvt_f64_f32_e32 v[13:14], v8
	v_mul_f64_e32 v[46:47], s[0:1], v[46:47]
	v_mul_f64_e32 v[10:11], s[0:1], v[10:11]
	v_cvt_f64_f32_e32 v[42:43], v25
	v_mul_f64_e32 v[4:5], s[0:1], v[4:5]
	v_mul_f64_e32 v[2:3], s[0:1], v[2:3]
	;; [unrolled: 1-line block ×4, first 2 shown]
	v_add_co_u32 v13, vcc_lo, v38, s6
	s_wait_alu 0xfffd
	v_add_co_ci_u32_e32 v14, vcc_lo, s7, v39, vcc_lo
	s_delay_alu instid0(VALU_DEP_2) | instskip(SKIP_1) | instid1(VALU_DEP_2)
	v_add_co_u32 v38, vcc_lo, v13, s6
	s_wait_alu 0xfffd
	v_add_co_ci_u32_e32 v39, vcc_lo, s7, v14, vcc_lo
	s_clause 0x1
	global_store_b64 v[13:14], v[40:41], off
	global_store_b64 v[38:39], v[44:45], off
	v_add_co_u32 v38, vcc_lo, v38, s2
	v_cvt_f32_f64_e32 v4, v[4:5]
	v_cvt_f32_f64_e32 v5, v[46:47]
	v_cvt_f64_f32_e32 v[13:14], v21
	v_cvt_f64_f32_e32 v[40:41], v23
	s_wait_alu 0xfffd
	v_add_co_ci_u32_e32 v39, vcc_lo, s3, v39, vcc_lo
	v_cvt_f64_f32_e32 v[23:24], v24
	v_cvt_f64_f32_e32 v[44:45], v12
	v_cvt_f64_f32_e32 v[46:47], v16
	global_store_b64 v[38:39], v[0:1], off
	v_add_co_u32 v0, vcc_lo, v38, s6
	s_wait_alu 0xfffd
	v_add_co_ci_u32_e32 v1, vcc_lo, s7, v39, vcc_lo
	v_cvt_f64_f32_e32 v[15:16], v15
	v_cvt_f64_f32_e32 v[38:39], v19
	;; [unrolled: 1-line block ×4, first 2 shown]
	v_cvt_f32_f64_e32 v2, v[2:3]
	v_cvt_f32_f64_e32 v3, v[6:7]
	;; [unrolled: 1-line block ×4, first 2 shown]
	v_cvt_f64_f32_e32 v[10:11], v20
	global_store_b64 v[0:1], v[4:5], off
	v_cvt_f64_f32_e32 v[4:5], v17
	v_mul_f64_e32 v[6:7], s[0:1], v[13:14]
	v_mul_f64_e32 v[12:13], s[0:1], v[40:41]
	;; [unrolled: 1-line block ×6, first 2 shown]
	v_cvt_f64_f32_e32 v[46:47], v34
	v_cvt_f64_f32_e32 v[34:35], v35
	v_add_co_u32 v0, vcc_lo, v0, s6
	s_wait_alu 0xfffd
	v_add_co_ci_u32_e32 v1, vcc_lo, s7, v1, vcc_lo
	v_mul_f64_e32 v[14:15], s[0:1], v[15:16]
	v_mul_f64_e32 v[16:17], s[0:1], v[38:39]
	;; [unrolled: 1-line block ×5, first 2 shown]
	v_cvt_f64_f32_e32 v[48:49], v67
	global_store_b64 v[0:1], v[8:9], off
	v_mul_f64_e32 v[10:11], s[0:1], v[10:11]
	v_cvt_f64_f32_e32 v[8:9], v28
	v_cvt_f64_f32_e32 v[28:29], v29
	v_add_co_u32 v0, vcc_lo, v0, s2
	s_wait_alu 0xfffd
	v_add_co_ci_u32_e32 v1, vcc_lo, s3, v1, vcc_lo
	global_store_b64 v[0:1], v[2:3], off
	v_mul_f64_e32 v[4:5], s[0:1], v[4:5]
	v_cvt_f32_f64_e32 v6, v[6:7]
	v_cvt_f32_f64_e32 v7, v[12:13]
	v_cvt_f32_f64_e32 v13, v[40:41]
	v_cvt_f64_f32_e32 v[40:41], v26
	v_cvt_f32_f64_e32 v12, v[23:24]
	v_cvt_f32_f64_e32 v22, v[42:43]
	v_mul_f64_e32 v[24:25], s[0:1], v[46:47]
	v_mul_f64_e32 v[34:35], s[0:1], v[34:35]
	v_cvt_f64_f32_e32 v[26:27], v27
	v_cvt_f64_f32_e32 v[42:43], v30
	v_cvt_f32_f64_e32 v23, v[44:45]
	v_cvt_f64_f32_e32 v[44:45], v33
	v_cvt_f32_f64_e32 v14, v[14:15]
	v_cvt_f32_f64_e32 v15, v[16:17]
	;; [unrolled: 1-line block ×4, first 2 shown]
	v_cvt_f64_f32_e32 v[18:19], v31
	v_cvt_f64_f32_e32 v[20:21], v32
	v_add_co_u32 v46, vcc_lo, v0, s6
	s_wait_alu 0xfffd
	v_add_co_ci_u32_e32 v47, vcc_lo, s7, v1, vcc_lo
	s_delay_alu instid0(VALU_DEP_2) | instskip(SKIP_1) | instid1(VALU_DEP_2)
	v_add_co_u32 v30, vcc_lo, v46, s6
	s_wait_alu 0xfffd
	v_add_co_ci_u32_e32 v31, vcc_lo, s7, v47, vcc_lo
	v_mul_f64_e32 v[2:3], s[0:1], v[8:9]
	s_delay_alu instid0(VALU_DEP_3) | instskip(SKIP_1) | instid1(VALU_DEP_3)
	v_add_co_u32 v0, vcc_lo, v30, s2
	s_wait_alu 0xfffd
	v_add_co_ci_u32_e32 v1, vcc_lo, s3, v31, vcc_lo
	v_mul_f64_e32 v[28:29], s[0:1], v[28:29]
	s_delay_alu instid0(VALU_DEP_3) | instskip(SKIP_1) | instid1(VALU_DEP_3)
	v_add_co_u32 v8, vcc_lo, v0, s6
	s_wait_alu 0xfffd
	v_add_co_ci_u32_e32 v9, vcc_lo, s7, v1, vcc_lo
	v_cvt_f32_f64_e32 v4, v[4:5]
	v_cvt_f32_f64_e32 v5, v[10:11]
	;; [unrolled: 1-line block ×4, first 2 shown]
	v_mul_f64_e32 v[32:33], s[0:1], v[40:41]
	global_store_b64 v[46:47], v[6:7], off
	v_add_co_u32 v6, vcc_lo, v8, s6
	s_wait_alu 0xfffd
	v_add_co_ci_u32_e32 v7, vcc_lo, s7, v9, vcc_lo
	v_cvt_f32_f64_e32 v24, v[24:25]
	v_cvt_f32_f64_e32 v25, v[34:35]
	v_mul_f64_e32 v[26:27], s[0:1], v[26:27]
	v_mul_f64_e32 v[34:35], s[0:1], v[42:43]
	;; [unrolled: 1-line block ×3, first 2 shown]
	v_add_co_u32 v38, vcc_lo, v6, s2
	v_mul_f64_e32 v[18:19], s[0:1], v[18:19]
	v_mul_f64_e32 v[20:21], s[0:1], v[20:21]
	s_wait_alu 0xfffd
	v_add_co_ci_u32_e32 v39, vcc_lo, s3, v7, vcc_lo
	global_store_b64 v[30:31], v[12:13], off
	v_add_co_u32 v12, vcc_lo, v38, s6
	s_wait_alu 0xfffd
	v_add_co_ci_u32_e32 v13, vcc_lo, s7, v39, vcc_lo
	global_store_b64 v[0:1], v[22:23], off
	global_store_b64 v[8:9], v[14:15], off
	global_store_b64 v[6:7], v[16:17], off
	global_store_b64 v[38:39], v[4:5], off
	global_store_b64 v[12:13], v[10:11], off
	v_cvt_f64_f32_e32 v[0:1], v52
	v_cvt_f64_f32_e32 v[4:5], v53
	v_cvt_f64_f32_e32 v[8:9], v56
	v_cvt_f64_f32_e32 v[10:11], v57
	v_add_co_u32 v6, vcc_lo, v12, s6
	s_wait_alu 0xfffd
	v_add_co_ci_u32_e32 v7, vcc_lo, s7, v13, vcc_lo
	v_cvt_f64_f32_e32 v[12:13], v50
	v_cvt_f64_f32_e32 v[14:15], v51
	;; [unrolled: 1-line block ×4, first 2 shown]
	v_cvt_f32_f64_e32 v2, v[2:3]
	v_cvt_f64_f32_e32 v[30:31], v58
	v_cvt_f32_f64_e32 v3, v[32:33]
	v_cvt_f64_f32_e32 v[32:33], v64
	v_cvt_f64_f32_e32 v[38:39], v59
	;; [unrolled: 1-line block ×4, first 2 shown]
	v_cvt_f32_f64_e32 v26, v[26:27]
	v_cvt_f32_f64_e32 v27, v[28:29]
	;; [unrolled: 1-line block ×3, first 2 shown]
	v_cvt_f64_f32_e32 v[34:35], v65
	v_cvt_f32_f64_e32 v29, v[36:37]
	global_store_b64 v[6:7], v[24:25], off
	v_cvt_f64_f32_e32 v[24:25], v68
	v_cvt_f64_f32_e32 v[36:37], v69
	v_cvt_f32_f64_e32 v18, v[18:19]
	v_cvt_f32_f64_e32 v19, v[20:21]
	v_cvt_f64_f32_e32 v[20:21], v62
	v_cvt_f64_f32_e32 v[44:45], v63
	;; [unrolled: 1-line block ×5, first 2 shown]
	v_add_co_u32 v6, vcc_lo, v6, s2
	s_wait_alu 0xfffd
	v_add_co_ci_u32_e32 v7, vcc_lo, s3, v7, vcc_lo
	v_mul_f64_e32 v[0:1], s[0:1], v[0:1]
	v_mul_f64_e32 v[4:5], s[0:1], v[4:5]
	;; [unrolled: 1-line block ×4, first 2 shown]
	v_add_co_u32 v54, vcc_lo, v6, s6
	s_wait_alu 0xfffd
	v_add_co_ci_u32_e32 v55, vcc_lo, s7, v7, vcc_lo
	v_mul_f64_e32 v[12:13], s[0:1], v[12:13]
	v_mul_f64_e32 v[14:15], s[0:1], v[14:15]
	;; [unrolled: 1-line block ×4, first 2 shown]
	v_add_co_u32 v56, vcc_lo, v54, s6
	v_mul_f64_e32 v[30:31], s[0:1], v[30:31]
	s_wait_alu 0xfffd
	v_add_co_ci_u32_e32 v57, vcc_lo, s7, v55, vcc_lo
	v_mul_f64_e32 v[32:33], s[0:1], v[32:33]
	v_mul_f64_e32 v[38:39], s[0:1], v[38:39]
	;; [unrolled: 1-line block ×4, first 2 shown]
	v_add_co_u32 v58, vcc_lo, v56, s2
	v_mul_f64_e32 v[34:35], s[0:1], v[34:35]
	s_wait_alu 0xfffd
	v_add_co_ci_u32_e32 v59, vcc_lo, s3, v57, vcc_lo
	v_mul_f64_e32 v[24:25], s[0:1], v[24:25]
	v_mul_f64_e32 v[36:37], s[0:1], v[36:37]
	global_store_b64 v[6:7], v[2:3], off
	global_store_b64 v[54:55], v[26:27], off
	;; [unrolled: 1-line block ×4, first 2 shown]
	v_mul_f64_e32 v[2:3], s[0:1], v[20:21]
	v_mul_f64_e32 v[6:7], s[0:1], v[44:45]
	;; [unrolled: 1-line block ×6, first 2 shown]
	v_cvt_f32_f64_e32 v0, v[0:1]
	v_cvt_f32_f64_e32 v1, v[4:5]
	v_cvt_f32_f64_e32 v8, v[8:9]
	v_cvt_f32_f64_e32 v9, v[10:11]
	v_add_co_u32 v4, vcc_lo, v58, s6
	s_wait_alu 0xfffd
	v_add_co_ci_u32_e32 v5, vcc_lo, s7, v59, vcc_lo
	v_cvt_f32_f64_e32 v10, v[12:13]
	v_cvt_f32_f64_e32 v11, v[14:15]
	;; [unrolled: 1-line block ×3, first 2 shown]
	v_add_co_u32 v22, vcc_lo, v4, s6
	v_cvt_f32_f64_e32 v12, v[16:17]
	s_wait_alu 0xfffd
	v_add_co_ci_u32_e32 v23, vcc_lo, s7, v5, vcc_lo
	v_cvt_f32_f64_e32 v14, v[30:31]
	v_cvt_f32_f64_e32 v30, v[32:33]
	v_add_co_u32 v32, vcc_lo, v22, s2
	v_cvt_f32_f64_e32 v15, v[38:39]
	v_cvt_f32_f64_e32 v16, v[40:41]
	;; [unrolled: 1-line block ×3, first 2 shown]
	s_wait_alu 0xfffd
	v_add_co_ci_u32_e32 v33, vcc_lo, s3, v23, vcc_lo
	v_cvt_f32_f64_e32 v31, v[34:35]
	v_add_co_u32 v34, vcc_lo, v32, s6
	v_cvt_f32_f64_e32 v24, v[24:25]
	v_cvt_f32_f64_e32 v25, v[36:37]
	s_wait_alu 0xfffd
	v_add_co_ci_u32_e32 v35, vcc_lo, s7, v33, vcc_lo
	v_cvt_f32_f64_e32 v2, v[2:3]
	v_cvt_f32_f64_e32 v3, v[6:7]
	;; [unrolled: 1-line block ×6, first 2 shown]
	v_add_co_u32 v20, vcc_lo, v34, s6
	s_wait_alu 0xfffd
	v_add_co_ci_u32_e32 v21, vcc_lo, s7, v35, vcc_lo
	global_store_b64 v[4:5], v[0:1], off
	v_add_co_u32 v0, vcc_lo, v20, s2
	s_wait_alu 0xfffd
	v_add_co_ci_u32_e32 v1, vcc_lo, s3, v21, vcc_lo
	global_store_b64 v[22:23], v[8:9], off
	;; [unrolled: 4-line block ×7, first 2 shown]
	global_store_b64 v[8:9], v[24:25], off
	global_store_b64 v[10:11], v[2:3], off
	;; [unrolled: 1-line block ×4, first 2 shown]
.LBB0_2:
	s_nop 0
	s_sendmsg sendmsg(MSG_DEALLOC_VGPRS)
	s_endpgm
	.section	.rodata,"a",@progbits
	.p2align	6, 0x0
	.amdhsa_kernel bluestein_single_fwd_len3750_dim1_sp_op_CI_CI
		.amdhsa_group_segment_fixed_size 30000
		.amdhsa_private_segment_fixed_size 604
		.amdhsa_kernarg_size 104
		.amdhsa_user_sgpr_count 2
		.amdhsa_user_sgpr_dispatch_ptr 0
		.amdhsa_user_sgpr_queue_ptr 0
		.amdhsa_user_sgpr_kernarg_segment_ptr 1
		.amdhsa_user_sgpr_dispatch_id 0
		.amdhsa_user_sgpr_private_segment_size 0
		.amdhsa_wavefront_size32 1
		.amdhsa_uses_dynamic_stack 0
		.amdhsa_enable_private_segment 1
		.amdhsa_system_sgpr_workgroup_id_x 1
		.amdhsa_system_sgpr_workgroup_id_y 0
		.amdhsa_system_sgpr_workgroup_id_z 0
		.amdhsa_system_sgpr_workgroup_info 0
		.amdhsa_system_vgpr_workitem_id 0
		.amdhsa_next_free_vgpr 256
		.amdhsa_next_free_sgpr 20
		.amdhsa_reserve_vcc 1
		.amdhsa_float_round_mode_32 0
		.amdhsa_float_round_mode_16_64 0
		.amdhsa_float_denorm_mode_32 3
		.amdhsa_float_denorm_mode_16_64 3
		.amdhsa_fp16_overflow 0
		.amdhsa_workgroup_processor_mode 1
		.amdhsa_memory_ordered 1
		.amdhsa_forward_progress 0
		.amdhsa_round_robin_scheduling 0
		.amdhsa_exception_fp_ieee_invalid_op 0
		.amdhsa_exception_fp_denorm_src 0
		.amdhsa_exception_fp_ieee_div_zero 0
		.amdhsa_exception_fp_ieee_overflow 0
		.amdhsa_exception_fp_ieee_underflow 0
		.amdhsa_exception_fp_ieee_inexact 0
		.amdhsa_exception_int_div_zero 0
	.end_amdhsa_kernel
	.text
.Lfunc_end0:
	.size	bluestein_single_fwd_len3750_dim1_sp_op_CI_CI, .Lfunc_end0-bluestein_single_fwd_len3750_dim1_sp_op_CI_CI
                                        ; -- End function
	.section	.AMDGPU.csdata,"",@progbits
; Kernel info:
; codeLenInByte = 40928
; NumSgprs: 22
; NumVgprs: 256
; ScratchSize: 604
; MemoryBound: 0
; FloatMode: 240
; IeeeMode: 1
; LDSByteSize: 30000 bytes/workgroup (compile time only)
; SGPRBlocks: 2
; VGPRBlocks: 31
; NumSGPRsForWavesPerEU: 22
; NumVGPRsForWavesPerEU: 256
; Occupancy: 4
; WaveLimiterHint : 1
; COMPUTE_PGM_RSRC2:SCRATCH_EN: 1
; COMPUTE_PGM_RSRC2:USER_SGPR: 2
; COMPUTE_PGM_RSRC2:TRAP_HANDLER: 0
; COMPUTE_PGM_RSRC2:TGID_X_EN: 1
; COMPUTE_PGM_RSRC2:TGID_Y_EN: 0
; COMPUTE_PGM_RSRC2:TGID_Z_EN: 0
; COMPUTE_PGM_RSRC2:TIDIG_COMP_CNT: 0
	.text
	.p2alignl 7, 3214868480
	.fill 96, 4, 3214868480
	.type	__hip_cuid_ec4d5ed688b2d1bd,@object ; @__hip_cuid_ec4d5ed688b2d1bd
	.section	.bss,"aw",@nobits
	.globl	__hip_cuid_ec4d5ed688b2d1bd
__hip_cuid_ec4d5ed688b2d1bd:
	.byte	0                               ; 0x0
	.size	__hip_cuid_ec4d5ed688b2d1bd, 1

	.ident	"AMD clang version 19.0.0git (https://github.com/RadeonOpenCompute/llvm-project roc-6.4.0 25133 c7fe45cf4b819c5991fe208aaa96edf142730f1d)"
	.section	".note.GNU-stack","",@progbits
	.addrsig
	.addrsig_sym __hip_cuid_ec4d5ed688b2d1bd
	.amdgpu_metadata
---
amdhsa.kernels:
  - .args:
      - .actual_access:  read_only
        .address_space:  global
        .offset:         0
        .size:           8
        .value_kind:     global_buffer
      - .actual_access:  read_only
        .address_space:  global
        .offset:         8
        .size:           8
        .value_kind:     global_buffer
      - .actual_access:  read_only
        .address_space:  global
        .offset:         16
        .size:           8
        .value_kind:     global_buffer
      - .actual_access:  read_only
        .address_space:  global
        .offset:         24
        .size:           8
        .value_kind:     global_buffer
      - .actual_access:  read_only
        .address_space:  global
        .offset:         32
        .size:           8
        .value_kind:     global_buffer
      - .offset:         40
        .size:           8
        .value_kind:     by_value
      - .address_space:  global
        .offset:         48
        .size:           8
        .value_kind:     global_buffer
      - .address_space:  global
        .offset:         56
        .size:           8
        .value_kind:     global_buffer
      - .address_space:  global
        .offset:         64
        .size:           8
        .value_kind:     global_buffer
      - .address_space:  global
        .offset:         72
        .size:           8
        .value_kind:     global_buffer
      - .offset:         80
        .size:           4
        .value_kind:     by_value
      - .address_space:  global
        .offset:         88
        .size:           8
        .value_kind:     global_buffer
      - .address_space:  global
        .offset:         96
        .size:           8
        .value_kind:     global_buffer
    .group_segment_fixed_size: 30000
    .kernarg_segment_align: 8
    .kernarg_segment_size: 104
    .language:       OpenCL C
    .language_version:
      - 2
      - 0
    .max_flat_workgroup_size: 125
    .name:           bluestein_single_fwd_len3750_dim1_sp_op_CI_CI
    .private_segment_fixed_size: 604
    .sgpr_count:     22
    .sgpr_spill_count: 0
    .symbol:         bluestein_single_fwd_len3750_dim1_sp_op_CI_CI.kd
    .uniform_work_group_size: 1
    .uses_dynamic_stack: false
    .vgpr_count:     256
    .vgpr_spill_count: 150
    .wavefront_size: 32
    .workgroup_processor_mode: 1
amdhsa.target:   amdgcn-amd-amdhsa--gfx1201
amdhsa.version:
  - 1
  - 2
...

	.end_amdgpu_metadata
